;; amdgpu-corpus repo=ROCm/rccl kind=compiled arch=gfx906 opt=O3
	.amdgcn_target "amdgcn-amd-amdhsa--gfx906"
	.amdhsa_code_object_version 6
	.text
	.protected	_Z23ncclDevKernel_Generic_124ncclDevKernelArgsStorageILm4096EE ; -- Begin function _Z23ncclDevKernel_Generic_124ncclDevKernelArgsStorageILm4096EE
	.globl	_Z23ncclDevKernel_Generic_124ncclDevKernelArgsStorageILm4096EE
	.p2align	8
	.type	_Z23ncclDevKernel_Generic_124ncclDevKernelArgsStorageILm4096EE,@function
_Z23ncclDevKernel_Generic_124ncclDevKernelArgsStorageILm4096EE: ; @_Z23ncclDevKernel_Generic_124ncclDevKernelArgsStorageILm4096EE
; %bb.0:
	s_add_u32 flat_scratch_lo, s12, s17
	s_addc_u32 flat_scratch_hi, s13, 0
	s_add_u32 s0, s0, s17
	s_addc_u32 s1, s1, 0
	s_mov_b32 s33, s16
	s_mov_b32 s54, s15
	;; [unrolled: 1-line block ×3, first 2 shown]
	s_mov_b64 s[34:35], s[10:11]
	s_mov_b64 s[36:37], s[8:9]
	;; [unrolled: 1-line block ×4, first 2 shown]
	v_cmp_gt_u32_e32 vcc, 12, v0
	s_mov_b32 s32, 0
	s_and_saveexec_b64 s[4:5], vcc
	s_cbranch_execz .LBB0_2
; %bb.1:
	v_lshlrev_b32_e32 v3, 2, v0
	global_load_dword v4, v3, s[36:37]
	s_waitcnt vmcnt(0)
	ds_write_b32 v3, v4 offset:16448
.LBB0_2:
	s_or_b64 exec, exec, s[4:5]
	s_load_dword s18, s[36:37], 0x100c
	v_lshrrev_b32_e32 v14, 6, v0
	v_cmp_lt_i32_e32 vcc, 0, v14
	s_and_saveexec_b64 s[4:5], vcc
	s_xor_b64 s[4:5], exec, s[4:5]
	s_cbranch_execz .LBB0_16
; %bb.3:
	v_cmp_lt_i32_e32 vcc, 2, v14
	s_and_saveexec_b64 s[6:7], vcc
	s_xor_b64 s[6:7], exec, s[6:7]
	s_cbranch_execz .LBB0_8
; %bb.4:
	v_cmp_eq_u32_e32 vcc, 3, v14
	s_and_saveexec_b64 s[8:9], vcc
	s_cbranch_execz .LBB0_7
; %bb.5:
	s_movk_i32 s10, 0xc0
	v_cmp_eq_u32_e32 vcc, s10, v0
	s_and_b64 exec, exec, vcc
; %bb.6:
	v_mov_b32_e32 v3, 0
	ds_write_b32 v3, v3 offset:16500
.LBB0_7:
	s_or_b64 exec, exec, s[8:9]
.LBB0_8:
	s_andn2_saveexec_b64 s[6:7], s[6:7]
	s_cbranch_execz .LBB0_15
; %bb.9:
	v_cmp_eq_u32_e32 vcc, 1, v14
	s_and_saveexec_b64 s[8:9], vcc
	s_cbranch_execz .LBB0_14
; %bb.10:
	s_movk_i32 s10, 0x44
	v_cmp_gt_u32_e32 vcc, s10, v0
	s_and_b64 exec, exec, vcc
	s_cbranch_execz .LBB0_14
; %bb.11:
	v_cmp_eq_u32_e32 vcc, 64, v0
	s_and_saveexec_b64 s[10:11], vcc
; %bb.12:
	v_mov_b32_e32 v3, 0
	v_mov_b32_e32 v4, v3
	ds_write_b64 v3, v[3:4] offset:19736
; %bb.13:
	s_or_b64 exec, exec, s[10:11]
	s_movk_i32 s10, 0x160
	v_mov_b32_e32 v3, 0xffffeb98
	v_mad_u32_u24 v5, v0, s10, v3
	v_mov_b32_e32 v3, 0
	v_mov_b32_e32 v4, v3
	ds_write_b64 v5, v[3:4]
.LBB0_14:
	s_or_b64 exec, exec, s[8:9]
.LBB0_15:
	s_or_b64 exec, exec, s[6:7]
.LBB0_16:
	s_andn2_saveexec_b64 s[4:5], s[4:5]
	s_cbranch_execz .LBB0_22
; %bb.17:
	s_load_dwordx2 s[8:9], s[36:37], 0x8
	v_lshlrev_b64 v[3:4], v0, 1
	s_mov_b64 s[6:7], 0
	v_add_co_u32_e32 v5, vcc, -1, v3
	v_addc_co_u32_e32 v6, vcc, -1, v4, vcc
	s_waitcnt lgkmcnt(0)
	v_and_b32_e32 v8, s9, v4
	v_and_b32_e32 v7, s8, v3
	v_cmp_eq_u64_e64 s[12:13], 0, v[7:8]
	v_cmp_ne_u64_e32 vcc, 0, v[7:8]
	s_and_saveexec_b64 s[10:11], vcc
	s_cbranch_execz .LBB0_54
; %bb.18:
	v_and_b32_e32 v8, s8, v5
	v_and_b32_e32 v7, s9, v6
	v_bcnt_u32_b32 v8, v8, 0
	v_bcnt_u32_b32 v7, v7, v8
	v_cmp_ne_u32_e32 vcc, s55, v7
	s_andn2_b64 s[12:13], s[12:13], exec
	s_and_b64 s[14:15], vcc, exec
	s_mov_b64 s[6:7], exec
	s_or_b64 s[12:13], s[12:13], s[14:15]
	s_or_b64 exec, exec, s[10:11]
	v_mov_b32_e32 v7, 0
	s_and_saveexec_b64 s[10:11], s[12:13]
	s_cbranch_execnz .LBB0_55
.LBB0_19:
	s_or_b64 exec, exec, s[10:11]
	s_and_saveexec_b64 s[8:9], s[6:7]
.LBB0_20:
	v_add_u32_e32 v3, v7, v0
	v_mov_b32_e32 v4, 0
	ds_write_b32 v4, v3 offset:16496
.LBB0_21:
	s_or_b64 exec, exec, s[8:9]
.LBB0_22:
	s_or_b64 exec, exec, s[4:5]
	v_cmp_eq_u32_e64 s[50:51], 0, v0
	s_waitcnt lgkmcnt(0)
	s_barrier
	s_and_saveexec_b64 s[4:5], s[50:51]
	s_cbranch_execz .LBB0_24
; %bb.23:
	v_mov_b32_e32 v5, 0
	ds_read_b32 v6, v5 offset:16496
	ds_read_b64 v[3:4], v5 offset:16448
	s_movk_i32 s6, 0x180
	s_waitcnt lgkmcnt(1)
	v_mul_lo_u32 v7, v6, s6
	v_mul_hi_i32 v6, v6, s6
	s_waitcnt lgkmcnt(0)
	v_add_co_u32_e32 v3, vcc, v3, v7
	v_addc_co_u32_e32 v4, vcc, v4, v6, vcc
	flat_load_dwordx2 v[3:4], v[3:4] offset:464
	ds_write_b32 v5, v5 offset:16500
	s_waitcnt vmcnt(0) lgkmcnt(0)
	ds_write_b64 v5, v[3:4] offset:16976
.LBB0_24:
	s_or_b64 exec, exec, s[4:5]
	s_and_b32 s66, 0xffff, s18
	v_cmp_lt_i32_e32 vcc, 0, v14
	s_and_saveexec_b64 s[4:5], vcc
	s_xor_b64 s[8:9], exec, s[4:5]
	s_cbranch_execz .LBB0_63
; %bb.25:
	v_cmp_ne_u32_e32 vcc, 1, v14
	s_and_saveexec_b64 s[4:5], vcc
	s_xor_b64 s[10:11], exec, s[4:5]
	s_cbranch_execz .LBB0_58
; %bb.26:
	v_add_u32_e32 v20, 0xffffff80, v0
	v_lshrrev_b16_e32 v3, 10, v20
	v_add_u16_e32 v3, v20, v3
	v_and_b32_e32 v3, 0xffffffc0, v3
	v_sub_u16_e32 v15, v20, v3
	v_bfe_i32 v3, v15, 0, 16
	v_lshlrev_b64 v[11:12], v3, 1
	s_add_i32 s20, s66, 0xffffff80
	v_add_co_u32_e32 v17, vcc, -1, v11
	s_movk_i32 s21, 0xffc0
	v_mul_u32_u24_e32 v16, 0x1010, v14
	v_addc_co_u32_e32 v18, vcc, -1, v12, vcc
	s_mov_b32 s22, 0
	v_mov_b32_e32 v19, 0
	s_mov_b32 s23, 0x66666667
	s_mov_b32 s12, s55
                                        ; implicit-def: $vgpr3_vgpr4_vgpr5_vgpr6
	s_branch .LBB0_29
.LBB0_27:                               ;   in Loop: Header=BB0_29 Depth=1
	s_or_b64 exec, exec, s[16:17]
	s_mov_b32 s15, s12
	v_mov_b32_e32 v7, v20
.LBB0_28:                               ;   in Loop: Header=BB0_29 Depth=1
	s_andn2_b64 vcc, exec, s[6:7]
	s_mov_b32 s12, s15
	v_mov_b32_e32 v20, v7
	s_cbranch_vccz .LBB0_58
.LBB0_29:                               ; =>This Inner Loop Header: Depth=1
	s_ashr_i32 s13, s12, 31
	s_lshl_b64 s[4:5], s[12:13], 4
	s_add_u32 s4, s36, s4
	s_addc_u32 s5, s37, s5
	s_load_dwordx2 s[6:7], s[4:5], 0x38
	s_waitcnt lgkmcnt(0)
	v_and_b32_e32 v8, s7, v12
	v_and_b32_e32 v7, s6, v11
	v_cmp_ne_u64_e32 vcc, 0, v[7:8]
	s_and_saveexec_b64 s[14:15], vcc
	s_cbranch_execz .LBB0_31
; %bb.30:                               ;   in Loop: Header=BB0_29 Depth=1
	v_and_b32_e32 v8, s6, v17
	v_and_b32_e32 v7, s7, v18
	v_bcnt_u32_b32 v8, v8, 0
	v_bcnt_u32_b32 v7, v7, v8
	v_add_u32_e32 v7, v16, v7
	ds_write_b8 v7, v15
.LBB0_31:                               ;   in Loop: Header=BB0_29 Depth=1
	s_or_b64 exec, exec, s[14:15]
	s_load_dwordx2 s[14:15], s[4:5], 0x30
	s_bcnt1_i32_b64 s24, s[6:7]
	s_mov_b64 s[4:5], -1
                                        ; implicit-def: $vgpr21
                                        ; implicit-def: $vgpr22
                                        ; implicit-def: $vgpr7
                                        ; implicit-def: $vgpr23
	s_waitcnt lgkmcnt(0)
	s_bfe_u32 s13, s14, 0x2000f
	s_cmp_lt_i32 s13, 1
	s_cbranch_scc1 .LBB0_39
; %bb.32:                               ;   in Loop: Header=BB0_29 Depth=1
	s_cmp_lg_u32 s13, 1
                                        ; implicit-def: $vgpr21
                                        ; implicit-def: $vgpr22
                                        ; implicit-def: $vgpr7
	s_cbranch_scc0 .LBB0_34
; %bb.33:                               ;   in Loop: Header=BB0_29 Depth=1
	v_mul_hi_i32 v7, v20, s23
	s_mov_b64 s[4:5], 0
	v_lshrrev_b32_e32 v8, 31, v7
	v_ashrrev_i32_e32 v7, 3, v7
	v_add_u32_e32 v21, v7, v8
	v_mul_lo_u32 v8, v21, 20
	v_mul_u32_u24_e64 v7, s24, 20
	v_sub_u32_e32 v22, v20, v8
.LBB0_34:                               ;   in Loop: Header=BB0_29 Depth=1
	s_andn2_b64 vcc, exec, s[4:5]
	s_movk_i32 s6, 0x140
	s_cbranch_vccnz .LBB0_36
; %bb.35:                               ;   in Loop: Header=BB0_29 Depth=1
	v_ashrrev_i32_e32 v7, 31, v20
	v_lshrrev_b32_e32 v7, 29, v7
	v_add_u32_e32 v7, v20, v7
	s_lshl_b32 s4, s24, 3
	v_ashrrev_i32_e32 v21, 3, v7
	v_and_b32_e32 v7, -8, v7
	v_sub_u32_e32 v22, v20, v7
	s_movk_i32 s6, 0x80
	v_mov_b32_e32 v7, s4
.LBB0_36:                               ;   in Loop: Header=BB0_29 Depth=1
	v_mov_b32_e32 v23, s6
	s_cbranch_execz .LBB0_40
.LBB0_37:                               ;   in Loop: Header=BB0_29 Depth=1
	v_cmp_eq_u32_e64 s[4:5], 0, v20
	s_and_saveexec_b64 s[6:7], s[4:5]
	s_cbranch_execz .LBB0_41
.LBB0_38:                               ;   in Loop: Header=BB0_29 Depth=1
	ds_write_b32 v19, v23 offset:17008
	s_or_b64 exec, exec, s[6:7]
	v_cmp_lt_i32_e32 vcc, v20, v7
	s_and_saveexec_b64 s[16:17], vcc
	s_cbranch_execz .LBB0_49
	s_branch .LBB0_42
.LBB0_39:                               ;   in Loop: Header=BB0_29 Depth=1
	s_andn2_b64 vcc, exec, s[4:5]
	s_cbranch_vccnz .LBB0_37
.LBB0_40:                               ;   in Loop: Header=BB0_29 Depth=1
	v_ashrrev_i32_e32 v7, 31, v20
	v_lshrrev_b32_e32 v7, 30, v7
	v_add_u32_e32 v7, v20, v7
	s_lshl_b32 s4, s24, 2
	v_ashrrev_i32_e32 v21, 2, v7
	v_and_b32_e32 v7, -4, v7
	v_sub_u32_e32 v22, v20, v7
	v_mov_b32_e32 v23, 64
	v_mov_b32_e32 v7, s4
	v_cmp_eq_u32_e64 s[4:5], 0, v20
	s_and_saveexec_b64 s[6:7], s[4:5]
	s_cbranch_execnz .LBB0_38
.LBB0_41:                               ;   in Loop: Header=BB0_29 Depth=1
	s_or_b64 exec, exec, s[6:7]
	v_cmp_lt_i32_e32 vcc, v20, v7
	s_and_saveexec_b64 s[16:17], vcc
	s_cbranch_execz .LBB0_49
.LBB0_42:                               ;   in Loop: Header=BB0_29 Depth=1
	ds_read_u8 v7, v19 offset:16472
	v_add_u32_e32 v8, v16, v21
	ds_read_u8 v24, v8
	s_waitcnt lgkmcnt(1)
	v_cmp_ne_u32_e64 s[6:7], 0, v7
	s_and_b64 vcc, exec, s[6:7]
	s_cbranch_vccz .LBB0_45
; %bb.43:                               ;   in Loop: Header=BB0_29 Depth=1
	s_mov_b64 s[18:19], -1
	s_and_b64 vcc, exec, s[6:7]
                                        ; implicit-def: $vgpr7_vgpr8_vgpr9_vgpr10
                                        ; implicit-def: $vgpr13
	s_cbranch_vccz .LBB0_46
.LBB0_44:                               ;   in Loop: Header=BB0_29 Depth=1
	ds_read_b32 v9, v19 offset:16476
	ds_read_b64 v[7:8], v19 offset:16480
	s_waitcnt lgkmcnt(2)
	v_mul_u32_u24_e32 v10, v23, v24
	v_lshlrev_b32_e32 v13, 4, v22
	v_add3_u32 v10, v13, s15, v10
	s_waitcnt lgkmcnt(1)
	v_and_b32_e32 v9, v9, v10
	s_waitcnt lgkmcnt(0)
	v_add_co_u32_e32 v7, vcc, v7, v9
	v_addc_co_u32_e32 v8, vcc, 0, v8, vcc
	flat_load_dwordx4 v[7:10], v[7:8]
	s_cbranch_execz .LBB0_47
	s_branch .LBB0_48
.LBB0_45:                               ;   in Loop: Header=BB0_29 Depth=1
	v_lshlrev_b32_e32 v3, 4, v22
	s_waitcnt lgkmcnt(0)
	v_mul_u32_u24_e32 v4, v23, v24
	v_add3_u32 v3, v3, s15, v4
	global_load_dwordx4 v[3:6], v3, s[36:37]
	s_mov_b64 s[18:19], -1
	s_and_b64 vcc, exec, s[6:7]
                                        ; implicit-def: $vgpr7_vgpr8_vgpr9_vgpr10
                                        ; implicit-def: $vgpr13
	s_cbranch_vccnz .LBB0_44
.LBB0_46:                               ;   in Loop: Header=BB0_29 Depth=1
	s_andn2_b64 vcc, exec, s[18:19]
	s_cbranch_vccnz .LBB0_48
.LBB0_47:                               ;   in Loop: Header=BB0_29 Depth=1
	s_waitcnt vmcnt(0) lgkmcnt(0)
	v_mov_b32_e32 v10, v6
	v_lshlrev_b32_e32 v13, 4, v22
	v_mov_b32_e32 v9, v5
	v_mov_b32_e32 v8, v4
	;; [unrolled: 1-line block ×3, first 2 shown]
.LBB0_48:                               ;   in Loop: Header=BB0_29 Depth=1
	s_waitcnt vmcnt(0)
	v_add_u32_e32 v3, s22, v21
	v_mad_u64_u32 v[3:4], s[6:7], v3, v23, v[13:14]
	s_waitcnt lgkmcnt(0)
	ds_write_b128 v3, v[7:10] offset:18704
	v_mov_b32_e32 v3, v7
	v_mov_b32_e32 v4, v8
	;; [unrolled: 1-line block ×4, first 2 shown]
.LBB0_49:                               ;   in Loop: Header=BB0_29 Depth=1
	s_or_b64 exec, exec, s[16:17]
	s_bitcmp0_b32 s14, 14
	s_cselect_b64 s[6:7], -1, 0
	s_mov_b64 s[16:17], -1
	s_and_b64 vcc, exec, s[6:7]
	v_readfirstlane_b32 s15, v0
                                        ; implicit-def: $vgpr7
	s_cbranch_vccnz .LBB0_51
; %bb.50:                               ;   in Loop: Header=BB0_29 Depth=1
	v_mov_b32_e32 v7, s20
	v_cmp_gt_i32_e32 vcc, 64, v20
	s_and_b32 s15, s14, 0x3fff
	v_cndmask_b32_e32 v7, 0, v7, vcc
	s_add_i32 s15, s15, s12
	v_add3_u32 v7, v20, v7, s21
	s_add_i32 s22, s22, s24
	s_cbranch_execnz .LBB0_28
	s_branch .LBB0_52
.LBB0_51:                               ;   in Loop: Header=BB0_29 Depth=1
	s_andn2_b64 vcc, exec, s[16:17]
	s_add_i32 s22, s22, s24
	s_cbranch_vccnz .LBB0_28
.LBB0_52:                               ;   in Loop: Header=BB0_29 Depth=1
	s_and_saveexec_b64 s[16:17], s[4:5]
	s_cbranch_execz .LBB0_27
; %bb.53:                               ;   in Loop: Header=BB0_29 Depth=1
	s_and_b32 s4, s14, 0x3fff
	s_add_i32 s5, s4, s12
	s_cmp_lg_u32 s4, 0
	s_cselect_b32 s4, s5, -1
	v_mov_b32_e32 v7, s12
	v_mov_b32_e32 v8, s4
	ds_write_b64 v19, v[7:8] offset:16992
	v_mov_b32_e32 v7, s13
	ds_write_b8 v19, v7 offset:17000
	v_mov_b32_e32 v7, s22
	s_lshr_b32 s4, s14, 17
	ds_write_b32 v19, v7 offset:17004
	v_mov_b32_e32 v7, s4
	v_mov_b32_e32 v20, 0
	ds_write_b16 v19, v7 offset:17002
	s_branch .LBB0_27
.LBB0_54:
	s_or_b64 exec, exec, s[10:11]
	v_mov_b32_e32 v7, 0
	s_and_saveexec_b64 s[10:11], s[12:13]
	s_cbranch_execz .LBB0_19
.LBB0_55:
	s_load_dwordx2 s[12:13], s[36:37], 0x10
	s_mov_b64 s[14:15], 0
                                        ; implicit-def: $sgpr19
	s_waitcnt lgkmcnt(0)
	v_and_b32_e32 v4, s13, v4
	v_and_b32_e32 v3, s12, v3
	v_cmp_ne_u64_e32 vcc, 0, v[3:4]
	s_and_saveexec_b64 s[16:17], vcc
	s_xor_b64 s[16:17], exec, s[16:17]
; %bb.56:
	v_and_b32_e32 v4, s12, v5
	v_and_b32_e32 v3, s13, v6
	v_bcnt_u32_b32 v4, v4, 0
	s_bcnt1_i32_b64 s19, s[8:9]
	v_bcnt_u32_b32 v3, v3, v4
	v_add_u32_e32 v3, s19, v3
	v_cmp_eq_u32_e32 vcc, s55, v3
	s_and_b64 s[14:15], vcc, exec
; %bb.57:
	s_or_b64 exec, exec, s[16:17]
	s_andn2_b64 s[6:7], s[6:7], exec
	s_and_b64 s[8:9], s[14:15], exec
	v_mov_b32_e32 v7, s19
	s_or_b64 s[6:7], s[6:7], s[8:9]
	s_or_b64 exec, exec, s[10:11]
	s_and_saveexec_b64 s[8:9], s[6:7]
	s_cbranch_execnz .LBB0_20
	s_branch .LBB0_21
.LBB0_58:
	s_andn2_saveexec_b64 s[4:5], s[10:11]
	s_cbranch_execz .LBB0_62
; %bb.59:
	s_movk_i32 s6, 0x58
	v_cmp_gt_u32_e32 vcc, s6, v0
	s_and_saveexec_b64 s[6:7], vcc
	s_cbranch_execz .LBB0_61
; %bb.60:
	v_mov_b32_e32 v3, 0
	ds_read_b32 v5, v3 offset:16496
	ds_read_b64 v[3:4], v3 offset:16448
	s_movk_i32 s10, 0x180
	v_lshlrev_b32_e32 v7, 4, v0
	s_waitcnt lgkmcnt(1)
	v_mul_lo_u32 v6, v5, s10
	v_mul_hi_i32 v5, v5, s10
	s_waitcnt lgkmcnt(0)
	v_add_co_u32_e32 v3, vcc, v3, v6
	v_addc_co_u32_e32 v4, vcc, v4, v5, vcc
	v_add_u32_e32 v5, 0xfffffc00, v7
	v_ashrrev_i32_e32 v6, 31, v5
	v_add_co_u32_e32 v3, vcc, v3, v5
	v_addc_co_u32_e32 v4, vcc, v4, v6, vcc
	flat_load_dwordx4 v[3:6], v[3:4] offset:96
	s_waitcnt vmcnt(0) lgkmcnt(0)
	ds_write_b128 v7, v[3:6] offset:15584
.LBB0_61:
	s_or_b64 exec, exec, s[6:7]
.LBB0_62:
	s_or_b64 exec, exec, s[4:5]
.LBB0_63:
	s_andn2_saveexec_b64 s[4:5], s[8:9]
	s_cbranch_execz .LBB0_67
; %bb.64:
	v_cmp_gt_u32_e32 vcc, 6, v0
	s_and_saveexec_b64 s[6:7], vcc
	s_cbranch_execz .LBB0_66
; %bb.65:
	v_mov_b32_e32 v3, 0
	ds_read_b64 v[3:4], v3 offset:16448
	v_lshlrev_b32_e32 v7, 4, v0
	s_waitcnt lgkmcnt(0)
	v_add_co_u32_e32 v3, vcc, v3, v7
	v_addc_co_u32_e32 v4, vcc, 0, v4, vcc
	flat_load_dwordx4 v[3:6], v[3:4]
	s_waitcnt vmcnt(0) lgkmcnt(0)
	ds_write_b128 v7, v[3:6] offset:16512
.LBB0_66:
	s_or_b64 exec, exec, s[6:7]
.LBB0_67:
	s_or_b64 exec, exec, s[4:5]
	v_mov_b32_e32 v41, 0
	s_waitcnt lgkmcnt(0)
	s_barrier
	ds_read_b32 v3, v41 offset:16500
	s_waitcnt lgkmcnt(0)
	v_cmp_ne_u32_e32 vcc, 0, v3
	s_cbranch_vccz .LBB0_80
.LBB0_68:
	s_and_saveexec_b64 s[4:5], s[50:51]
	s_cbranch_execz .LBB0_79
; %bb.69:
	v_mov_b32_e32 v6, 0
	ds_read_b64 v[2:3], v6 offset:16976
	ds_read_b32 v7, v6 offset:17004
	s_waitcnt lgkmcnt(0)
	v_add_co_u32_e32 v0, vcc, 1, v2
	v_addc_co_u32_e32 v1, vcc, 0, v3, vcc
	v_ashrrev_i32_e32 v5, 31, v7
	v_add_co_u32_e32 v4, vcc, v2, v7
	v_addc_co_u32_e32 v5, vcc, v3, v5, vcc
	v_cmp_gt_u64_e32 vcc, v[0:1], v[4:5]
	s_cbranch_vccnz .LBB0_78
; %bb.70:
	ds_read_u8 v8, v6 offset:17000
	s_movk_i32 s6, 0x494e
	s_movk_i32 s7, 0x491a
	s_branch .LBB0_72
.LBB0_71:                               ;   in Loop: Header=BB0_72 Depth=1
	v_add_co_u32_e32 v0, vcc, 1, v0
	v_addc_co_u32_e32 v1, vcc, 0, v1, vcc
	s_waitcnt lgkmcnt(0)
	v_ashrrev_i32_e32 v5, 31, v7
	v_add_co_u32_e32 v4, vcc, v2, v7
	v_addc_co_u32_e32 v5, vcc, v3, v5, vcc
	v_cmp_le_u64_e32 vcc, v[0:1], v[4:5]
	s_add_i32 s6, s6, 64
	s_addk_i32 s7, 0x80
	s_cbranch_vccz .LBB0_78
.LBB0_72:                               ; =>This Inner Loop Header: Depth=1
	s_waitcnt lgkmcnt(0)
	v_cmp_ne_u32_sdwa s[4:5], v8, v6 src0_sel:BYTE_0 src1_sel:DWORD
	s_and_b64 vcc, exec, s[4:5]
	s_cbranch_vccz .LBB0_77
; %bb.73:                               ;   in Loop: Header=BB0_72 Depth=1
	v_mov_b32_e32 v4, s7
	ds_read_u8 v4, v4
	s_waitcnt lgkmcnt(0)
	v_and_b32_e32 v4, 1, v4
	s_cbranch_execnz .LBB0_75
.LBB0_74:                               ;   in Loop: Header=BB0_72 Depth=1
	v_mov_b32_e32 v4, s6
	ds_read_u16 v4, v4
	s_waitcnt lgkmcnt(0)
	v_bfe_u32 v4, v4, 6, 1
.LBB0_75:                               ;   in Loop: Header=BB0_72 Depth=1
	v_cmp_eq_u32_e32 vcc, 0, v4
	s_cbranch_vccnz .LBB0_71
; %bb.76:                               ;   in Loop: Header=BB0_72 Depth=1
	s_memrealtime s[4:5]
	ds_read_u8 v8, v6 offset:17000
	ds_read_b32 v2, v6 offset:16496
	ds_read_b64 v[4:5], v6 offset:16600
	s_waitcnt lgkmcnt(0)
	v_ashrrev_i32_e32 v3, 31, v2
	v_lshlrev_b64 v[2:3], 10, v[2:3]
	v_add_co_u32_e32 v2, vcc, v4, v2
	v_and_b32_e32 v4, 63, v0
	v_addc_co_u32_e32 v3, vcc, v5, v3, vcc
	v_lshlrev_b32_e32 v4, 4, v4
	v_add_co_u32_e32 v4, vcc, v2, v4
	v_addc_co_u32_e32 v5, vcc, 0, v3, vcc
	v_mov_b32_e32 v2, s4
	v_mov_b32_e32 v3, s5
	flat_store_dwordx4 v[4:5], v[0:3]
	ds_read_b64 v[2:3], v6 offset:16976
	ds_read_b32 v7, v6 offset:17004
	s_branch .LBB0_71
.LBB0_77:                               ;   in Loop: Header=BB0_72 Depth=1
                                        ; implicit-def: $vgpr4
	s_branch .LBB0_74
.LBB0_78:
	v_mov_b32_e32 v2, 0
	ds_read_b32 v3, v2 offset:16496
	ds_read_b64 v[0:1], v2 offset:16448
	s_movk_i32 s4, 0x180
	ds_write_b64 v2, v[4:5] offset:16976
	s_waitcnt lgkmcnt(0)
	v_mul_lo_u32 v6, v3, s4
	v_mul_hi_i32 v2, v3, s4
	v_add_co_u32_e32 v0, vcc, v0, v6
	v_addc_co_u32_e32 v1, vcc, v1, v2, vcc
	flat_store_dwordx2 v[0:1], v[4:5] offset:464
.LBB0_79:
	s_endpgm
.LBB0_80:
	s_movk_i32 s4, 0x44
	v_lshlrev_b64 v[43:44], v0, 1
	v_cmp_eq_u32_e32 vcc, 1, v14
	v_cmp_gt_u32_e64 s[4:5], s4, v0
	s_and_b64 s[64:65], vcc, s[4:5]
	s_movk_i32 s4, 0x160
	v_mov_b32_e32 v3, 0xffffeb98
	v_add_co_u32_e32 v56, vcc, -1, v43
	v_lshlrev_b32_e32 v2, 20, v2
	v_lshlrev_b32_e32 v1, 10, v1
	v_cmp_eq_u32_e64 s[52:53], 64, v0
	v_mad_u32_u24 v45, v0, s4, v3
	v_and_b32_e32 v46, 63, v0
	v_mul_u32_u24_e32 v47, 0x1010, v14
	v_addc_co_u32_e32 v57, vcc, -1, v44, vcc
	s_movk_i32 s67, 0x58
	v_or3_b32 v40, v0, v1, v2
	s_mov_b32 s68, 0x66666667
	s_movk_i32 s69, 0xffc0
	s_branch .LBB0_82
.LBB0_81:                               ;   in Loop: Header=BB0_82 Depth=1
	s_waitcnt vmcnt(0) lgkmcnt(0)
	s_barrier
	ds_read_b32 v0, v41 offset:16500
	s_waitcnt lgkmcnt(0)
	v_cmp_ne_u32_e64 s[4:5], 0, v0
	s_and_b64 vcc, exec, s[4:5]
	s_cbranch_vccnz .LBB0_68
.LBB0_82:                               ; =>This Loop Header: Depth=1
                                        ;     Child Loop BB0_86 Depth 2
                                        ;     Child Loop BB0_577 Depth 2
	;; [unrolled: 1-line block ×3, first 2 shown]
	s_and_saveexec_b64 s[4:5], s[50:51]
	s_cbranch_execz .LBB0_92
; %bb.83:                               ;   in Loop: Header=BB0_82 Depth=1
	ds_read_b64 v[2:3], v41 offset:16976
	ds_read_b32 v4, v41 offset:17004
	s_waitcnt lgkmcnt(0)
	v_add_co_u32_e32 v0, vcc, 1, v2
	v_addc_co_u32_e32 v1, vcc, 0, v3, vcc
	s_waitcnt lgkmcnt(0)
	v_ashrrev_i32_e32 v6, 31, v4
	v_add_co_u32_e32 v5, vcc, v2, v4
	v_addc_co_u32_e32 v6, vcc, v3, v6, vcc
	v_cmp_gt_u64_e32 vcc, v[0:1], v[5:6]
	s_cbranch_vccnz .LBB0_92
; %bb.84:                               ;   in Loop: Header=BB0_82 Depth=1
	ds_read_u8 v5, v41 offset:17000
	s_movk_i32 s8, 0x494e
	s_movk_i32 s9, 0x491a
	s_branch .LBB0_86
.LBB0_85:                               ;   in Loop: Header=BB0_86 Depth=2
	v_add_co_u32_e32 v0, vcc, 1, v0
	v_addc_co_u32_e32 v1, vcc, 0, v1, vcc
	s_waitcnt lgkmcnt(0)
	v_ashrrev_i32_e32 v7, 31, v4
	v_add_co_u32_e32 v6, vcc, v2, v4
	v_addc_co_u32_e32 v7, vcc, v3, v7, vcc
	v_cmp_le_u64_e32 vcc, v[0:1], v[6:7]
	s_add_i32 s8, s8, 64
	s_addk_i32 s9, 0x80
	s_cbranch_vccz .LBB0_92
.LBB0_86:                               ;   Parent Loop BB0_82 Depth=1
                                        ; =>  This Inner Loop Header: Depth=2
	s_waitcnt lgkmcnt(0)
	v_cmp_ne_u32_sdwa s[6:7], v5, v41 src0_sel:BYTE_0 src1_sel:DWORD
	s_and_b64 vcc, exec, s[6:7]
	s_cbranch_vccz .LBB0_91
; %bb.87:                               ;   in Loop: Header=BB0_86 Depth=2
	v_mov_b32_e32 v6, s9
	ds_read_u8 v6, v6
	s_waitcnt lgkmcnt(0)
	v_and_b32_e32 v6, 1, v6
	s_cbranch_execnz .LBB0_89
.LBB0_88:                               ;   in Loop: Header=BB0_86 Depth=2
	v_mov_b32_e32 v6, s8
	ds_read_u16 v6, v6
	s_waitcnt lgkmcnt(0)
	v_bfe_u32 v6, v6, 6, 1
.LBB0_89:                               ;   in Loop: Header=BB0_86 Depth=2
	v_cmp_eq_u32_e32 vcc, 0, v6
	s_cbranch_vccnz .LBB0_85
; %bb.90:                               ;   in Loop: Header=BB0_86 Depth=2
	s_memrealtime s[6:7]
	ds_read_u8 v5, v41 offset:17000
	ds_read_b32 v2, v41 offset:16496
	ds_read_b64 v[6:7], v41 offset:16592
	v_and_b32_e32 v4, 63, v0
	v_lshlrev_b32_e32 v4, 4, v4
	s_waitcnt lgkmcnt(0)
	v_ashrrev_i32_e32 v3, 31, v2
	v_lshlrev_b64 v[2:3], 10, v[2:3]
	v_add_co_u32_e32 v2, vcc, v6, v2
	v_addc_co_u32_e32 v3, vcc, v7, v3, vcc
	v_add_co_u32_e32 v6, vcc, v2, v4
	v_addc_co_u32_e32 v7, vcc, 0, v3, vcc
	v_mov_b32_e32 v2, s6
	v_mov_b32_e32 v3, s7
	flat_store_dwordx4 v[6:7], v[0:3]
	ds_read_b64 v[2:3], v41 offset:16976
	ds_read_b32 v4, v41 offset:17004
	s_branch .LBB0_85
.LBB0_91:                               ;   in Loop: Header=BB0_86 Depth=2
                                        ; implicit-def: $vgpr6
	s_branch .LBB0_88
.LBB0_92:                               ;   in Loop: Header=BB0_82 Depth=1
	s_or_b64 exec, exec, s[4:5]
	ds_read_u16 v0, v41 offset:17002
	s_waitcnt lgkmcnt(0)
	v_cmp_gt_u32_sdwa s[4:5], v0, s67 src0_sel:WORD_0 src1_sel:DWORD
	v_readfirstlane_b32 s70, v0
	s_and_b64 vcc, exec, s[4:5]
	s_mov_b64 s[4:5], -1
	s_cbranch_vccz .LBB0_257
; %bb.93:                               ;   in Loop: Header=BB0_82 Depth=1
	s_and_b32 s71, 0xffff, s70
	s_cmpk_gt_u32 s71, 0x85
	s_cbranch_scc0 .LBB0_172
; %bb.94:                               ;   in Loop: Header=BB0_82 Depth=1
	s_cmpk_gt_u32 s71, 0x9b
	s_cbranch_scc0 .LBB0_134
; %bb.95:                               ;   in Loop: Header=BB0_82 Depth=1
	;; [unrolled: 3-line block ×6, first 2 shown]
	s_add_u32 s8, s36, 0x1000
	s_addc_u32 s9, s37, 0
	s_getpc_b64 s[16:17]
	s_add_u32 s16, s16, _Z50ncclDevFunc_AlltoAllPivot_RING_SIMPLE_Sum_i8_0_0_1v@rel32@lo+4
	s_addc_u32 s17, s17, _Z50ncclDevFunc_AlltoAllPivot_RING_SIMPLE_Sum_i8_0_0_1v@rel32@hi+12
	s_mov_b64 s[4:5], s[48:49]
	s_mov_b64 s[6:7], s[38:39]
	s_mov_b64 s[10:11], s[34:35]
	s_mov_b32 s12, s55
	s_mov_b32 s13, s54
	;; [unrolled: 1-line block ×3, first 2 shown]
	v_mov_b32_e32 v31, v40
	s_swappc_b64 s[30:31], s[16:17]
	s_mov_b64 s[4:5], 0
.LBB0_100:                              ;   in Loop: Header=BB0_82 Depth=1
	s_andn2_b64 vcc, exec, s[4:5]
	s_cbranch_vccnz .LBB0_102
; %bb.101:                              ;   in Loop: Header=BB0_82 Depth=1
	s_add_u32 s8, s36, 0x1000
	s_addc_u32 s9, s37, 0
	s_getpc_b64 s[16:17]
	s_add_u32 s16, s16, _Z45ncclDevFunc_SendRecv_RING_SIMPLE_Sum_i8_0_0_1v@rel32@lo+4
	s_addc_u32 s17, s17, _Z45ncclDevFunc_SendRecv_RING_SIMPLE_Sum_i8_0_0_1v@rel32@hi+12
	s_mov_b64 s[4:5], s[48:49]
	s_mov_b64 s[6:7], s[38:39]
	;; [unrolled: 1-line block ×3, first 2 shown]
	s_mov_b32 s12, s55
	s_mov_b32 s13, s54
	;; [unrolled: 1-line block ×3, first 2 shown]
	v_mov_b32_e32 v31, v40
	s_swappc_b64 s[30:31], s[16:17]
.LBB0_102:                              ;   in Loop: Header=BB0_82 Depth=1
	s_mov_b64 s[4:5], 0
.LBB0_103:                              ;   in Loop: Header=BB0_82 Depth=1
	s_andn2_b64 vcc, exec, s[4:5]
	s_cbranch_vccnz .LBB0_108
; %bb.104:                              ;   in Loop: Header=BB0_82 Depth=1
	s_cmpk_lg_i32 s71, 0xad
	s_mov_b64 s[4:5], -1
	s_cbranch_scc0 .LBB0_106
; %bb.105:                              ;   in Loop: Header=BB0_82 Depth=1
	s_add_u32 s8, s36, 0x1000
	s_addc_u32 s9, s37, 0
	s_getpc_b64 s[16:17]
	s_add_u32 s16, s16, _Z54ncclDevFunc_AllReduce_RING_SIMPLE_SumPostDiv_u64_0_0_1v@rel32@lo+4
	s_addc_u32 s17, s17, _Z54ncclDevFunc_AllReduce_RING_SIMPLE_SumPostDiv_u64_0_0_1v@rel32@hi+12
	s_mov_b64 s[4:5], s[48:49]
	s_mov_b64 s[6:7], s[38:39]
	;; [unrolled: 1-line block ×3, first 2 shown]
	s_mov_b32 s12, s55
	s_mov_b32 s13, s54
	;; [unrolled: 1-line block ×3, first 2 shown]
	v_mov_b32_e32 v31, v40
	s_swappc_b64 s[30:31], s[16:17]
	s_mov_b64 s[4:5], 0
.LBB0_106:                              ;   in Loop: Header=BB0_82 Depth=1
	s_andn2_b64 vcc, exec, s[4:5]
	s_cbranch_vccnz .LBB0_108
; %bb.107:                              ;   in Loop: Header=BB0_82 Depth=1
	s_add_u32 s8, s36, 0x1000
	s_addc_u32 s9, s37, 0
	s_getpc_b64 s[16:17]
	s_add_u32 s16, s16, _Z54ncclDevFunc_AllReduce_RING_SIMPLE_SumPostDiv_u32_0_0_1v@rel32@lo+4
	s_addc_u32 s17, s17, _Z54ncclDevFunc_AllReduce_RING_SIMPLE_SumPostDiv_u32_0_0_1v@rel32@hi+12
	s_mov_b64 s[4:5], s[48:49]
	s_mov_b64 s[6:7], s[38:39]
	s_mov_b64 s[10:11], s[34:35]
	s_mov_b32 s12, s55
	s_mov_b32 s13, s54
	;; [unrolled: 1-line block ×3, first 2 shown]
	v_mov_b32_e32 v31, v40
	s_swappc_b64 s[30:31], s[16:17]
.LBB0_108:                              ;   in Loop: Header=BB0_82 Depth=1
	s_mov_b64 s[4:5], 0
.LBB0_109:                              ;   in Loop: Header=BB0_82 Depth=1
	s_andn2_b64 vcc, exec, s[4:5]
	s_cbranch_vccnz .LBB0_117
; %bb.110:                              ;   in Loop: Header=BB0_82 Depth=1
	s_cmpk_gt_u32 s71, 0xa9
	s_mov_b64 s[4:5], -1
	s_cbranch_scc0 .LBB0_112
; %bb.111:                              ;   in Loop: Header=BB0_82 Depth=1
	s_add_u32 s8, s36, 0x1000
	s_addc_u32 s9, s37, 0
	s_getpc_b64 s[16:17]
	s_add_u32 s16, s16, _Z53ncclDevFunc_AllReduce_RING_SIMPLE_SumPostDiv_u8_0_0_1v@rel32@lo+4
	s_addc_u32 s17, s17, _Z53ncclDevFunc_AllReduce_RING_SIMPLE_SumPostDiv_u8_0_0_1v@rel32@hi+12
	s_mov_b64 s[4:5], s[48:49]
	s_mov_b64 s[6:7], s[38:39]
	;; [unrolled: 1-line block ×3, first 2 shown]
	s_mov_b32 s12, s55
	s_mov_b32 s13, s54
	;; [unrolled: 1-line block ×3, first 2 shown]
	v_mov_b32_e32 v31, v40
	s_swappc_b64 s[30:31], s[16:17]
	s_mov_b64 s[4:5], 0
.LBB0_112:                              ;   in Loop: Header=BB0_82 Depth=1
	s_andn2_b64 vcc, exec, s[4:5]
	s_cbranch_vccnz .LBB0_117
; %bb.113:                              ;   in Loop: Header=BB0_82 Depth=1
	s_cmpk_lg_i32 s71, 0xa7
	s_mov_b64 s[4:5], -1
	s_cbranch_scc0 .LBB0_115
; %bb.114:                              ;   in Loop: Header=BB0_82 Depth=1
	s_add_u32 s8, s36, 0x1000
	s_addc_u32 s9, s37, 0
	s_getpc_b64 s[16:17]
	s_add_u32 s16, s16, _Z56ncclDevFunc_AllReduce_RING_SIMPLE_PreMulSum_f8e5m2_0_0_1v@rel32@lo+4
	s_addc_u32 s17, s17, _Z56ncclDevFunc_AllReduce_RING_SIMPLE_PreMulSum_f8e5m2_0_0_1v@rel32@hi+12
	s_mov_b64 s[4:5], s[48:49]
	s_mov_b64 s[6:7], s[38:39]
	s_mov_b64 s[10:11], s[34:35]
	s_mov_b32 s12, s55
	s_mov_b32 s13, s54
	s_mov_b32 s14, s33
	v_mov_b32_e32 v31, v40
	s_swappc_b64 s[30:31], s[16:17]
	s_mov_b64 s[4:5], 0
.LBB0_115:                              ;   in Loop: Header=BB0_82 Depth=1
	s_andn2_b64 vcc, exec, s[4:5]
	s_cbranch_vccnz .LBB0_117
; %bb.116:                              ;   in Loop: Header=BB0_82 Depth=1
	s_add_u32 s8, s36, 0x1000
	s_addc_u32 s9, s37, 0
	s_getpc_b64 s[16:17]
	s_add_u32 s16, s16, _Z56ncclDevFunc_AllReduce_RING_SIMPLE_PreMulSum_f8e4m3_0_0_1v@rel32@lo+4
	s_addc_u32 s17, s17, _Z56ncclDevFunc_AllReduce_RING_SIMPLE_PreMulSum_f8e4m3_0_0_1v@rel32@hi+12
	s_mov_b64 s[4:5], s[48:49]
	s_mov_b64 s[6:7], s[38:39]
	;; [unrolled: 1-line block ×3, first 2 shown]
	s_mov_b32 s12, s55
	s_mov_b32 s13, s54
	;; [unrolled: 1-line block ×3, first 2 shown]
	v_mov_b32_e32 v31, v40
	s_swappc_b64 s[30:31], s[16:17]
.LBB0_117:                              ;   in Loop: Header=BB0_82 Depth=1
	s_mov_b64 s[4:5], 0
.LBB0_118:                              ;   in Loop: Header=BB0_82 Depth=1
	s_andn2_b64 vcc, exec, s[4:5]
	s_cbranch_vccnz .LBB0_133
; %bb.119:                              ;   in Loop: Header=BB0_82 Depth=1
	s_cmpk_gt_u32 s71, 0xa0
	s_mov_b64 s[4:5], -1
	s_cbranch_scc0 .LBB0_128
; %bb.120:                              ;   in Loop: Header=BB0_82 Depth=1
	s_cmpk_gt_u32 s71, 0xa3
	s_cbranch_scc0 .LBB0_122
; %bb.121:                              ;   in Loop: Header=BB0_82 Depth=1
	s_add_u32 s8, s36, 0x1000
	s_addc_u32 s9, s37, 0
	s_getpc_b64 s[16:17]
	s_add_u32 s16, s16, _Z54ncclDevFunc_AllReduce_RING_SIMPLE_PreMulSum_bf16_0_1_1v@rel32@lo+4
	s_addc_u32 s17, s17, _Z54ncclDevFunc_AllReduce_RING_SIMPLE_PreMulSum_bf16_0_1_1v@rel32@hi+12
	s_mov_b64 s[4:5], s[48:49]
	s_mov_b64 s[6:7], s[38:39]
	;; [unrolled: 1-line block ×3, first 2 shown]
	s_mov_b32 s12, s55
	s_mov_b32 s13, s54
	;; [unrolled: 1-line block ×3, first 2 shown]
	v_mov_b32_e32 v31, v40
	s_swappc_b64 s[30:31], s[16:17]
	s_mov_b64 s[4:5], 0
.LBB0_122:                              ;   in Loop: Header=BB0_82 Depth=1
	s_andn2_b64 vcc, exec, s[4:5]
	s_cbranch_vccnz .LBB0_127
; %bb.123:                              ;   in Loop: Header=BB0_82 Depth=1
	s_cmpk_lg_i32 s71, 0xa1
	s_mov_b64 s[4:5], -1
	s_cbranch_scc0 .LBB0_125
; %bb.124:                              ;   in Loop: Header=BB0_82 Depth=1
	s_add_u32 s8, s36, 0x1000
	s_addc_u32 s9, s37, 0
	s_getpc_b64 s[16:17]
	s_add_u32 s16, s16, _Z54ncclDevFunc_AllReduce_RING_SIMPLE_PreMulSum_bf16_0_0_1v@rel32@lo+4
	s_addc_u32 s17, s17, _Z54ncclDevFunc_AllReduce_RING_SIMPLE_PreMulSum_bf16_0_0_1v@rel32@hi+12
	s_mov_b64 s[4:5], s[48:49]
	s_mov_b64 s[6:7], s[38:39]
	;; [unrolled: 1-line block ×3, first 2 shown]
	s_mov_b32 s12, s55
	s_mov_b32 s13, s54
	;; [unrolled: 1-line block ×3, first 2 shown]
	v_mov_b32_e32 v31, v40
	s_swappc_b64 s[30:31], s[16:17]
	s_mov_b64 s[4:5], 0
.LBB0_125:                              ;   in Loop: Header=BB0_82 Depth=1
	s_andn2_b64 vcc, exec, s[4:5]
	s_cbranch_vccnz .LBB0_127
; %bb.126:                              ;   in Loop: Header=BB0_82 Depth=1
	s_add_u32 s8, s36, 0x1000
	s_addc_u32 s9, s37, 0
	s_getpc_b64 s[16:17]
	s_add_u32 s16, s16, _Z53ncclDevFunc_AllReduce_RING_SIMPLE_PreMulSum_f64_0_0_1v@rel32@lo+4
	s_addc_u32 s17, s17, _Z53ncclDevFunc_AllReduce_RING_SIMPLE_PreMulSum_f64_0_0_1v@rel32@hi+12
	s_mov_b64 s[4:5], s[48:49]
	s_mov_b64 s[6:7], s[38:39]
	;; [unrolled: 1-line block ×3, first 2 shown]
	s_mov_b32 s12, s55
	s_mov_b32 s13, s54
	;; [unrolled: 1-line block ×3, first 2 shown]
	v_mov_b32_e32 v31, v40
	s_swappc_b64 s[30:31], s[16:17]
.LBB0_127:                              ;   in Loop: Header=BB0_82 Depth=1
	s_mov_b64 s[4:5], 0
.LBB0_128:                              ;   in Loop: Header=BB0_82 Depth=1
	s_andn2_b64 vcc, exec, s[4:5]
	s_cbranch_vccnz .LBB0_133
; %bb.129:                              ;   in Loop: Header=BB0_82 Depth=1
	s_cmpk_gt_u32 s71, 0x9d
	s_mov_b64 s[4:5], -1
	s_cbranch_scc0 .LBB0_131
; %bb.130:                              ;   in Loop: Header=BB0_82 Depth=1
	s_add_u32 s8, s36, 0x1000
	s_addc_u32 s9, s37, 0
	s_getpc_b64 s[16:17]
	s_add_u32 s16, s16, _Z53ncclDevFunc_AllReduce_RING_SIMPLE_PreMulSum_f32_0_0_1v@rel32@lo+4
	s_addc_u32 s17, s17, _Z53ncclDevFunc_AllReduce_RING_SIMPLE_PreMulSum_f32_0_0_1v@rel32@hi+12
	s_mov_b64 s[4:5], s[48:49]
	s_mov_b64 s[6:7], s[38:39]
	;; [unrolled: 1-line block ×3, first 2 shown]
	s_mov_b32 s12, s55
	s_mov_b32 s13, s54
	;; [unrolled: 1-line block ×3, first 2 shown]
	v_mov_b32_e32 v31, v40
	s_swappc_b64 s[30:31], s[16:17]
	s_mov_b64 s[4:5], 0
.LBB0_131:                              ;   in Loop: Header=BB0_82 Depth=1
	s_andn2_b64 vcc, exec, s[4:5]
	s_cbranch_vccnz .LBB0_133
; %bb.132:                              ;   in Loop: Header=BB0_82 Depth=1
	s_add_u32 s8, s36, 0x1000
	s_addc_u32 s9, s37, 0
	s_getpc_b64 s[16:17]
	s_add_u32 s16, s16, _Z53ncclDevFunc_AllReduce_RING_SIMPLE_PreMulSum_f16_0_0_1v@rel32@lo+4
	s_addc_u32 s17, s17, _Z53ncclDevFunc_AllReduce_RING_SIMPLE_PreMulSum_f16_0_0_1v@rel32@hi+12
	s_mov_b64 s[4:5], s[48:49]
	s_mov_b64 s[6:7], s[38:39]
	;; [unrolled: 1-line block ×3, first 2 shown]
	s_mov_b32 s12, s55
	s_mov_b32 s13, s54
	;; [unrolled: 1-line block ×3, first 2 shown]
	v_mov_b32_e32 v31, v40
	s_swappc_b64 s[30:31], s[16:17]
.LBB0_133:                              ;   in Loop: Header=BB0_82 Depth=1
	s_mov_b64 s[4:5], 0
.LBB0_134:                              ;   in Loop: Header=BB0_82 Depth=1
	s_andn2_b64 vcc, exec, s[4:5]
	s_cbranch_vccnz .LBB0_171
; %bb.135:                              ;   in Loop: Header=BB0_82 Depth=1
	s_cmpk_gt_u32 s71, 0x90
	s_mov_b64 s[4:5], -1
	s_cbranch_scc0 .LBB0_152
; %bb.136:                              ;   in Loop: Header=BB0_82 Depth=1
	s_cmpk_gt_u32 s71, 0x95
	s_cbranch_scc0 .LBB0_146
; %bb.137:                              ;   in Loop: Header=BB0_82 Depth=1
	s_cmpk_gt_u32 s71, 0x98
	s_cbranch_scc0 .LBB0_143
; %bb.138:                              ;   in Loop: Header=BB0_82 Depth=1
	s_cmpk_lg_i32 s71, 0x99
	s_cbranch_scc0 .LBB0_140
; %bb.139:                              ;   in Loop: Header=BB0_82 Depth=1
	s_add_u32 s8, s36, 0x1000
	s_addc_u32 s9, s37, 0
	s_getpc_b64 s[16:17]
	s_add_u32 s16, s16, _Z53ncclDevFunc_AllReduce_RING_SIMPLE_PreMulSum_u64_0_0_1v@rel32@lo+4
	s_addc_u32 s17, s17, _Z53ncclDevFunc_AllReduce_RING_SIMPLE_PreMulSum_u64_0_0_1v@rel32@hi+12
	s_mov_b64 s[4:5], s[48:49]
	s_mov_b64 s[6:7], s[38:39]
	;; [unrolled: 1-line block ×3, first 2 shown]
	s_mov_b32 s12, s55
	s_mov_b32 s13, s54
	;; [unrolled: 1-line block ×3, first 2 shown]
	v_mov_b32_e32 v31, v40
	s_swappc_b64 s[30:31], s[16:17]
	s_mov_b64 s[4:5], 0
.LBB0_140:                              ;   in Loop: Header=BB0_82 Depth=1
	s_andn2_b64 vcc, exec, s[4:5]
	s_cbranch_vccnz .LBB0_142
; %bb.141:                              ;   in Loop: Header=BB0_82 Depth=1
	s_add_u32 s8, s36, 0x1000
	s_addc_u32 s9, s37, 0
	s_getpc_b64 s[16:17]
	s_add_u32 s16, s16, _Z53ncclDevFunc_AllReduce_RING_SIMPLE_PreMulSum_u32_0_0_1v@rel32@lo+4
	s_addc_u32 s17, s17, _Z53ncclDevFunc_AllReduce_RING_SIMPLE_PreMulSum_u32_0_0_1v@rel32@hi+12
	s_mov_b64 s[4:5], s[48:49]
	s_mov_b64 s[6:7], s[38:39]
	;; [unrolled: 1-line block ×3, first 2 shown]
	s_mov_b32 s12, s55
	s_mov_b32 s13, s54
	;; [unrolled: 1-line block ×3, first 2 shown]
	v_mov_b32_e32 v31, v40
	s_swappc_b64 s[30:31], s[16:17]
.LBB0_142:                              ;   in Loop: Header=BB0_82 Depth=1
	s_mov_b64 s[4:5], 0
.LBB0_143:                              ;   in Loop: Header=BB0_82 Depth=1
	s_andn2_b64 vcc, exec, s[4:5]
	s_cbranch_vccnz .LBB0_145
; %bb.144:                              ;   in Loop: Header=BB0_82 Depth=1
	s_add_u32 s8, s36, 0x1000
	s_addc_u32 s9, s37, 0
	s_getpc_b64 s[16:17]
	s_add_u32 s16, s16, _Z52ncclDevFunc_AllReduce_RING_SIMPLE_PreMulSum_u8_0_0_1v@rel32@lo+4
	s_addc_u32 s17, s17, _Z52ncclDevFunc_AllReduce_RING_SIMPLE_PreMulSum_u8_0_0_1v@rel32@hi+12
	s_mov_b64 s[4:5], s[48:49]
	s_mov_b64 s[6:7], s[38:39]
	;; [unrolled: 1-line block ×3, first 2 shown]
	s_mov_b32 s12, s55
	s_mov_b32 s13, s54
	;; [unrolled: 1-line block ×3, first 2 shown]
	v_mov_b32_e32 v31, v40
	s_swappc_b64 s[30:31], s[16:17]
.LBB0_145:                              ;   in Loop: Header=BB0_82 Depth=1
	s_mov_b64 s[4:5], 0
.LBB0_146:                              ;   in Loop: Header=BB0_82 Depth=1
	s_andn2_b64 vcc, exec, s[4:5]
	s_cbranch_vccnz .LBB0_151
; %bb.147:                              ;   in Loop: Header=BB0_82 Depth=1
	s_cmpk_gt_u32 s71, 0x93
	s_mov_b64 s[4:5], -1
	s_cbranch_scc0 .LBB0_149
; %bb.148:                              ;   in Loop: Header=BB0_82 Depth=1
	s_add_u32 s8, s36, 0x1000
	s_addc_u32 s9, s37, 0
	s_getpc_b64 s[16:17]
	s_add_u32 s16, s16, _Z53ncclDevFunc_AllReduce_RING_SIMPLE_MinMax_f8e5m2_0_0_1v@rel32@lo+4
	s_addc_u32 s17, s17, _Z53ncclDevFunc_AllReduce_RING_SIMPLE_MinMax_f8e5m2_0_0_1v@rel32@hi+12
	s_mov_b64 s[4:5], s[48:49]
	s_mov_b64 s[6:7], s[38:39]
	;; [unrolled: 1-line block ×3, first 2 shown]
	s_mov_b32 s12, s55
	s_mov_b32 s13, s54
	;; [unrolled: 1-line block ×3, first 2 shown]
	v_mov_b32_e32 v31, v40
	s_swappc_b64 s[30:31], s[16:17]
	s_mov_b64 s[4:5], 0
.LBB0_149:                              ;   in Loop: Header=BB0_82 Depth=1
	s_andn2_b64 vcc, exec, s[4:5]
	s_cbranch_vccnz .LBB0_151
; %bb.150:                              ;   in Loop: Header=BB0_82 Depth=1
	s_add_u32 s8, s36, 0x1000
	s_addc_u32 s9, s37, 0
	s_getpc_b64 s[16:17]
	s_add_u32 s16, s16, _Z53ncclDevFunc_AllReduce_RING_SIMPLE_MinMax_f8e4m3_0_0_1v@rel32@lo+4
	s_addc_u32 s17, s17, _Z53ncclDevFunc_AllReduce_RING_SIMPLE_MinMax_f8e4m3_0_0_1v@rel32@hi+12
	s_mov_b64 s[4:5], s[48:49]
	s_mov_b64 s[6:7], s[38:39]
	;; [unrolled: 1-line block ×3, first 2 shown]
	s_mov_b32 s12, s55
	s_mov_b32 s13, s54
	;; [unrolled: 1-line block ×3, first 2 shown]
	v_mov_b32_e32 v31, v40
	s_swappc_b64 s[30:31], s[16:17]
.LBB0_151:                              ;   in Loop: Header=BB0_82 Depth=1
	s_mov_b64 s[4:5], 0
.LBB0_152:                              ;   in Loop: Header=BB0_82 Depth=1
	s_andn2_b64 vcc, exec, s[4:5]
	s_cbranch_vccnz .LBB0_171
; %bb.153:                              ;   in Loop: Header=BB0_82 Depth=1
	s_cmpk_gt_u32 s71, 0x8a
	s_mov_b64 s[4:5], -1
	s_cbranch_scc0 .LBB0_166
; %bb.154:                              ;   in Loop: Header=BB0_82 Depth=1
	s_cmpk_gt_u32 s71, 0x8d
	s_cbranch_scc0 .LBB0_160
; %bb.155:                              ;   in Loop: Header=BB0_82 Depth=1
	s_cmpk_eq_i32 s71, 0x90
	s_cbranch_scc1 .LBB0_157
; %bb.156:                              ;   in Loop: Header=BB0_82 Depth=1
	s_add_u32 s8, s36, 0x1000
	s_addc_u32 s9, s37, 0
	s_getpc_b64 s[16:17]
	s_add_u32 s16, s16, _Z51ncclDevFunc_AllReduce_RING_SIMPLE_MinMax_bf16_0_0_1v@rel32@lo+4
	s_addc_u32 s17, s17, _Z51ncclDevFunc_AllReduce_RING_SIMPLE_MinMax_bf16_0_0_1v@rel32@hi+12
	s_mov_b64 s[4:5], s[48:49]
	s_mov_b64 s[6:7], s[38:39]
	;; [unrolled: 1-line block ×3, first 2 shown]
	s_mov_b32 s12, s55
	s_mov_b32 s13, s54
	;; [unrolled: 1-line block ×3, first 2 shown]
	v_mov_b32_e32 v31, v40
	s_swappc_b64 s[30:31], s[16:17]
	s_mov_b64 s[4:5], 0
.LBB0_157:                              ;   in Loop: Header=BB0_82 Depth=1
	s_andn2_b64 vcc, exec, s[4:5]
	s_cbranch_vccnz .LBB0_159
; %bb.158:                              ;   in Loop: Header=BB0_82 Depth=1
	s_add_u32 s8, s36, 0x1000
	s_addc_u32 s9, s37, 0
	s_getpc_b64 s[16:17]
	s_add_u32 s16, s16, _Z51ncclDevFunc_AllReduce_RING_SIMPLE_MinMax_bf16_0_1_1v@rel32@lo+4
	s_addc_u32 s17, s17, _Z51ncclDevFunc_AllReduce_RING_SIMPLE_MinMax_bf16_0_1_1v@rel32@hi+12
	s_mov_b64 s[4:5], s[48:49]
	s_mov_b64 s[6:7], s[38:39]
	;; [unrolled: 1-line block ×3, first 2 shown]
	s_mov_b32 s12, s55
	s_mov_b32 s13, s54
	;; [unrolled: 1-line block ×3, first 2 shown]
	v_mov_b32_e32 v31, v40
	s_swappc_b64 s[30:31], s[16:17]
.LBB0_159:                              ;   in Loop: Header=BB0_82 Depth=1
	s_mov_b64 s[4:5], 0
.LBB0_160:                              ;   in Loop: Header=BB0_82 Depth=1
	s_andn2_b64 vcc, exec, s[4:5]
	s_cbranch_vccnz .LBB0_165
; %bb.161:                              ;   in Loop: Header=BB0_82 Depth=1
	s_cmpk_lg_i32 s71, 0x8b
	s_mov_b64 s[4:5], -1
	s_cbranch_scc0 .LBB0_163
; %bb.162:                              ;   in Loop: Header=BB0_82 Depth=1
	s_add_u32 s8, s36, 0x1000
	s_addc_u32 s9, s37, 0
	s_getpc_b64 s[16:17]
	s_add_u32 s16, s16, _Z50ncclDevFunc_AllReduce_RING_SIMPLE_MinMax_f64_0_0_1v@rel32@lo+4
	s_addc_u32 s17, s17, _Z50ncclDevFunc_AllReduce_RING_SIMPLE_MinMax_f64_0_0_1v@rel32@hi+12
	s_mov_b64 s[4:5], s[48:49]
	s_mov_b64 s[6:7], s[38:39]
	;; [unrolled: 1-line block ×3, first 2 shown]
	s_mov_b32 s12, s55
	s_mov_b32 s13, s54
	;; [unrolled: 1-line block ×3, first 2 shown]
	v_mov_b32_e32 v31, v40
	s_swappc_b64 s[30:31], s[16:17]
	s_mov_b64 s[4:5], 0
.LBB0_163:                              ;   in Loop: Header=BB0_82 Depth=1
	s_andn2_b64 vcc, exec, s[4:5]
	s_cbranch_vccnz .LBB0_165
; %bb.164:                              ;   in Loop: Header=BB0_82 Depth=1
	s_add_u32 s8, s36, 0x1000
	s_addc_u32 s9, s37, 0
	s_getpc_b64 s[16:17]
	s_add_u32 s16, s16, _Z50ncclDevFunc_AllReduce_RING_SIMPLE_MinMax_f32_0_0_1v@rel32@lo+4
	s_addc_u32 s17, s17, _Z50ncclDevFunc_AllReduce_RING_SIMPLE_MinMax_f32_0_0_1v@rel32@hi+12
	s_mov_b64 s[4:5], s[48:49]
	s_mov_b64 s[6:7], s[38:39]
	;; [unrolled: 1-line block ×3, first 2 shown]
	s_mov_b32 s12, s55
	s_mov_b32 s13, s54
	;; [unrolled: 1-line block ×3, first 2 shown]
	v_mov_b32_e32 v31, v40
	s_swappc_b64 s[30:31], s[16:17]
.LBB0_165:                              ;   in Loop: Header=BB0_82 Depth=1
	s_mov_b64 s[4:5], 0
.LBB0_166:                              ;   in Loop: Header=BB0_82 Depth=1
	s_andn2_b64 vcc, exec, s[4:5]
	s_cbranch_vccnz .LBB0_171
; %bb.167:                              ;   in Loop: Header=BB0_82 Depth=1
	s_cmpk_gt_u32 s71, 0x87
	s_mov_b64 s[4:5], -1
	s_cbranch_scc0 .LBB0_169
; %bb.168:                              ;   in Loop: Header=BB0_82 Depth=1
	s_add_u32 s8, s36, 0x1000
	s_addc_u32 s9, s37, 0
	s_getpc_b64 s[16:17]
	s_add_u32 s16, s16, _Z50ncclDevFunc_AllReduce_RING_SIMPLE_MinMax_f16_0_0_1v@rel32@lo+4
	s_addc_u32 s17, s17, _Z50ncclDevFunc_AllReduce_RING_SIMPLE_MinMax_f16_0_0_1v@rel32@hi+12
	s_mov_b64 s[4:5], s[48:49]
	s_mov_b64 s[6:7], s[38:39]
	s_mov_b64 s[10:11], s[34:35]
	s_mov_b32 s12, s55
	s_mov_b32 s13, s54
	s_mov_b32 s14, s33
	v_mov_b32_e32 v31, v40
	s_swappc_b64 s[30:31], s[16:17]
	s_mov_b64 s[4:5], 0
.LBB0_169:                              ;   in Loop: Header=BB0_82 Depth=1
	s_andn2_b64 vcc, exec, s[4:5]
	s_cbranch_vccnz .LBB0_171
; %bb.170:                              ;   in Loop: Header=BB0_82 Depth=1
	s_add_u32 s8, s36, 0x1000
	s_addc_u32 s9, s37, 0
	s_getpc_b64 s[16:17]
	s_add_u32 s16, s16, _Z50ncclDevFunc_AllReduce_RING_SIMPLE_MinMax_u64_0_0_1v@rel32@lo+4
	s_addc_u32 s17, s17, _Z50ncclDevFunc_AllReduce_RING_SIMPLE_MinMax_u64_0_0_1v@rel32@hi+12
	s_mov_b64 s[4:5], s[48:49]
	s_mov_b64 s[6:7], s[38:39]
	s_mov_b64 s[10:11], s[34:35]
	s_mov_b32 s12, s55
	s_mov_b32 s13, s54
	s_mov_b32 s14, s33
	v_mov_b32_e32 v31, v40
	s_swappc_b64 s[30:31], s[16:17]
.LBB0_171:                              ;   in Loop: Header=BB0_82 Depth=1
	s_mov_b64 s[4:5], 0
.LBB0_172:                              ;   in Loop: Header=BB0_82 Depth=1
	s_andn2_b64 vcc, exec, s[4:5]
	s_cbranch_vccnz .LBB0_256
; %bb.173:                              ;   in Loop: Header=BB0_82 Depth=1
	s_cmpk_gt_u32 s71, 0x6e
	s_mov_b64 s[4:5], -1
	s_cbranch_scc0 .LBB0_215
; %bb.174:                              ;   in Loop: Header=BB0_82 Depth=1
	s_cmpk_gt_u32 s71, 0x79
	s_cbranch_scc0 .LBB0_194
; %bb.175:                              ;   in Loop: Header=BB0_82 Depth=1
	s_cmpk_gt_u32 s71, 0x7f
	;; [unrolled: 3-line block ×3, first 2 shown]
	s_cbranch_scc0 .LBB0_182
; %bb.177:                              ;   in Loop: Header=BB0_82 Depth=1
	s_cmpk_lg_i32 s71, 0x83
	s_cbranch_scc0 .LBB0_179
; %bb.178:                              ;   in Loop: Header=BB0_82 Depth=1
	s_add_u32 s8, s36, 0x1000
	s_addc_u32 s9, s37, 0
	s_getpc_b64 s[16:17]
	s_add_u32 s16, s16, _Z50ncclDevFunc_AllReduce_RING_SIMPLE_MinMax_u32_0_0_1v@rel32@lo+4
	s_addc_u32 s17, s17, _Z50ncclDevFunc_AllReduce_RING_SIMPLE_MinMax_u32_0_0_1v@rel32@hi+12
	s_mov_b64 s[4:5], s[48:49]
	s_mov_b64 s[6:7], s[38:39]
	;; [unrolled: 1-line block ×3, first 2 shown]
	s_mov_b32 s12, s55
	s_mov_b32 s13, s54
	;; [unrolled: 1-line block ×3, first 2 shown]
	v_mov_b32_e32 v31, v40
	s_swappc_b64 s[30:31], s[16:17]
	s_mov_b64 s[4:5], 0
.LBB0_179:                              ;   in Loop: Header=BB0_82 Depth=1
	s_andn2_b64 vcc, exec, s[4:5]
	s_cbranch_vccnz .LBB0_181
; %bb.180:                              ;   in Loop: Header=BB0_82 Depth=1
	s_add_u32 s8, s36, 0x1000
	s_addc_u32 s9, s37, 0
	s_getpc_b64 s[16:17]
	s_add_u32 s16, s16, _Z49ncclDevFunc_AllReduce_RING_SIMPLE_MinMax_u8_0_0_1v@rel32@lo+4
	s_addc_u32 s17, s17, _Z49ncclDevFunc_AllReduce_RING_SIMPLE_MinMax_u8_0_0_1v@rel32@hi+12
	s_mov_b64 s[4:5], s[48:49]
	s_mov_b64 s[6:7], s[38:39]
	;; [unrolled: 1-line block ×3, first 2 shown]
	s_mov_b32 s12, s55
	s_mov_b32 s13, s54
	;; [unrolled: 1-line block ×3, first 2 shown]
	v_mov_b32_e32 v31, v40
	s_swappc_b64 s[30:31], s[16:17]
.LBB0_181:                              ;   in Loop: Header=BB0_82 Depth=1
	s_mov_b64 s[4:5], 0
.LBB0_182:                              ;   in Loop: Header=BB0_82 Depth=1
	s_andn2_b64 vcc, exec, s[4:5]
	s_cbranch_vccnz .LBB0_184
; %bb.183:                              ;   in Loop: Header=BB0_82 Depth=1
	s_add_u32 s8, s36, 0x1000
	s_addc_u32 s9, s37, 0
	s_getpc_b64 s[16:17]
	s_add_u32 s16, s16, _Z51ncclDevFunc_AllReduce_RING_SIMPLE_Prod_f8e5m2_0_0_1v@rel32@lo+4
	s_addc_u32 s17, s17, _Z51ncclDevFunc_AllReduce_RING_SIMPLE_Prod_f8e5m2_0_0_1v@rel32@hi+12
	s_mov_b64 s[4:5], s[48:49]
	s_mov_b64 s[6:7], s[38:39]
	;; [unrolled: 1-line block ×3, first 2 shown]
	s_mov_b32 s12, s55
	s_mov_b32 s13, s54
	;; [unrolled: 1-line block ×3, first 2 shown]
	v_mov_b32_e32 v31, v40
	s_swappc_b64 s[30:31], s[16:17]
.LBB0_184:                              ;   in Loop: Header=BB0_82 Depth=1
	s_mov_b64 s[4:5], 0
.LBB0_185:                              ;   in Loop: Header=BB0_82 Depth=1
	s_andn2_b64 vcc, exec, s[4:5]
	s_cbranch_vccnz .LBB0_193
; %bb.186:                              ;   in Loop: Header=BB0_82 Depth=1
	s_cmpk_gt_u32 s71, 0x7c
	s_mov_b64 s[4:5], -1
	s_cbranch_scc0 .LBB0_188
; %bb.187:                              ;   in Loop: Header=BB0_82 Depth=1
	s_add_u32 s8, s36, 0x1000
	s_addc_u32 s9, s37, 0
	s_getpc_b64 s[16:17]
	s_add_u32 s16, s16, _Z51ncclDevFunc_AllReduce_RING_SIMPLE_Prod_f8e4m3_0_0_1v@rel32@lo+4
	s_addc_u32 s17, s17, _Z51ncclDevFunc_AllReduce_RING_SIMPLE_Prod_f8e4m3_0_0_1v@rel32@hi+12
	s_mov_b64 s[4:5], s[48:49]
	s_mov_b64 s[6:7], s[38:39]
	s_mov_b64 s[10:11], s[34:35]
	s_mov_b32 s12, s55
	s_mov_b32 s13, s54
	s_mov_b32 s14, s33
	v_mov_b32_e32 v31, v40
	s_swappc_b64 s[30:31], s[16:17]
	s_mov_b64 s[4:5], 0
.LBB0_188:                              ;   in Loop: Header=BB0_82 Depth=1
	s_andn2_b64 vcc, exec, s[4:5]
	s_cbranch_vccnz .LBB0_193
; %bb.189:                              ;   in Loop: Header=BB0_82 Depth=1
	s_cmpk_eq_i32 s71, 0x7c
	s_mov_b64 s[4:5], -1
	s_cbranch_scc1 .LBB0_191
; %bb.190:                              ;   in Loop: Header=BB0_82 Depth=1
	s_add_u32 s8, s36, 0x1000
	s_addc_u32 s9, s37, 0
	s_getpc_b64 s[16:17]
	s_add_u32 s16, s16, _Z49ncclDevFunc_AllReduce_RING_SIMPLE_Prod_bf16_0_0_1v@rel32@lo+4
	s_addc_u32 s17, s17, _Z49ncclDevFunc_AllReduce_RING_SIMPLE_Prod_bf16_0_0_1v@rel32@hi+12
	s_mov_b64 s[4:5], s[48:49]
	s_mov_b64 s[6:7], s[38:39]
	;; [unrolled: 1-line block ×3, first 2 shown]
	s_mov_b32 s12, s55
	s_mov_b32 s13, s54
	;; [unrolled: 1-line block ×3, first 2 shown]
	v_mov_b32_e32 v31, v40
	s_swappc_b64 s[30:31], s[16:17]
	s_mov_b64 s[4:5], 0
.LBB0_191:                              ;   in Loop: Header=BB0_82 Depth=1
	s_andn2_b64 vcc, exec, s[4:5]
	s_cbranch_vccnz .LBB0_193
; %bb.192:                              ;   in Loop: Header=BB0_82 Depth=1
	s_add_u32 s8, s36, 0x1000
	s_addc_u32 s9, s37, 0
	s_getpc_b64 s[16:17]
	s_add_u32 s16, s16, _Z49ncclDevFunc_AllReduce_RING_SIMPLE_Prod_bf16_0_1_1v@rel32@lo+4
	s_addc_u32 s17, s17, _Z49ncclDevFunc_AllReduce_RING_SIMPLE_Prod_bf16_0_1_1v@rel32@hi+12
	s_mov_b64 s[4:5], s[48:49]
	s_mov_b64 s[6:7], s[38:39]
	;; [unrolled: 1-line block ×3, first 2 shown]
	s_mov_b32 s12, s55
	s_mov_b32 s13, s54
	;; [unrolled: 1-line block ×3, first 2 shown]
	v_mov_b32_e32 v31, v40
	s_swappc_b64 s[30:31], s[16:17]
.LBB0_193:                              ;   in Loop: Header=BB0_82 Depth=1
	s_mov_b64 s[4:5], 0
.LBB0_194:                              ;   in Loop: Header=BB0_82 Depth=1
	s_andn2_b64 vcc, exec, s[4:5]
	s_cbranch_vccnz .LBB0_214
; %bb.195:                              ;   in Loop: Header=BB0_82 Depth=1
	s_cmpk_gt_u32 s71, 0x73
	s_mov_b64 s[4:5], -1
	s_cbranch_scc0 .LBB0_205
; %bb.196:                              ;   in Loop: Header=BB0_82 Depth=1
	s_cmpk_gt_u32 s71, 0x76
	s_cbranch_scc0 .LBB0_202
; %bb.197:                              ;   in Loop: Header=BB0_82 Depth=1
	s_cmpk_lg_i32 s71, 0x77
	s_cbranch_scc0 .LBB0_199
; %bb.198:                              ;   in Loop: Header=BB0_82 Depth=1
	s_add_u32 s8, s36, 0x1000
	s_addc_u32 s9, s37, 0
	s_getpc_b64 s[16:17]
	s_add_u32 s16, s16, _Z48ncclDevFunc_AllReduce_RING_SIMPLE_Prod_f64_0_0_1v@rel32@lo+4
	s_addc_u32 s17, s17, _Z48ncclDevFunc_AllReduce_RING_SIMPLE_Prod_f64_0_0_1v@rel32@hi+12
	s_mov_b64 s[4:5], s[48:49]
	s_mov_b64 s[6:7], s[38:39]
	;; [unrolled: 1-line block ×3, first 2 shown]
	s_mov_b32 s12, s55
	s_mov_b32 s13, s54
	;; [unrolled: 1-line block ×3, first 2 shown]
	v_mov_b32_e32 v31, v40
	s_swappc_b64 s[30:31], s[16:17]
	s_mov_b64 s[4:5], 0
.LBB0_199:                              ;   in Loop: Header=BB0_82 Depth=1
	s_andn2_b64 vcc, exec, s[4:5]
	s_cbranch_vccnz .LBB0_201
; %bb.200:                              ;   in Loop: Header=BB0_82 Depth=1
	s_add_u32 s8, s36, 0x1000
	s_addc_u32 s9, s37, 0
	s_getpc_b64 s[16:17]
	s_add_u32 s16, s16, _Z48ncclDevFunc_AllReduce_RING_SIMPLE_Prod_f32_0_0_1v@rel32@lo+4
	s_addc_u32 s17, s17, _Z48ncclDevFunc_AllReduce_RING_SIMPLE_Prod_f32_0_0_1v@rel32@hi+12
	s_mov_b64 s[4:5], s[48:49]
	s_mov_b64 s[6:7], s[38:39]
	;; [unrolled: 1-line block ×3, first 2 shown]
	s_mov_b32 s12, s55
	s_mov_b32 s13, s54
	s_mov_b32 s14, s33
	v_mov_b32_e32 v31, v40
	s_swappc_b64 s[30:31], s[16:17]
.LBB0_201:                              ;   in Loop: Header=BB0_82 Depth=1
	s_mov_b64 s[4:5], 0
.LBB0_202:                              ;   in Loop: Header=BB0_82 Depth=1
	s_andn2_b64 vcc, exec, s[4:5]
	s_cbranch_vccnz .LBB0_204
; %bb.203:                              ;   in Loop: Header=BB0_82 Depth=1
	s_add_u32 s8, s36, 0x1000
	s_addc_u32 s9, s37, 0
	s_getpc_b64 s[16:17]
	s_add_u32 s16, s16, _Z48ncclDevFunc_AllReduce_RING_SIMPLE_Prod_f16_0_0_1v@rel32@lo+4
	s_addc_u32 s17, s17, _Z48ncclDevFunc_AllReduce_RING_SIMPLE_Prod_f16_0_0_1v@rel32@hi+12
	s_mov_b64 s[4:5], s[48:49]
	s_mov_b64 s[6:7], s[38:39]
	s_mov_b64 s[10:11], s[34:35]
	s_mov_b32 s12, s55
	s_mov_b32 s13, s54
	;; [unrolled: 1-line block ×3, first 2 shown]
	v_mov_b32_e32 v31, v40
	s_swappc_b64 s[30:31], s[16:17]
.LBB0_204:                              ;   in Loop: Header=BB0_82 Depth=1
	s_mov_b64 s[4:5], 0
.LBB0_205:                              ;   in Loop: Header=BB0_82 Depth=1
	s_andn2_b64 vcc, exec, s[4:5]
	s_cbranch_vccnz .LBB0_214
; %bb.206:                              ;   in Loop: Header=BB0_82 Depth=1
	s_cmpk_gt_u32 s71, 0x70
	s_mov_b64 s[4:5], -1
	s_cbranch_scc0 .LBB0_212
; %bb.207:                              ;   in Loop: Header=BB0_82 Depth=1
	s_cmpk_lg_i32 s71, 0x71
	s_cbranch_scc0 .LBB0_209
; %bb.208:                              ;   in Loop: Header=BB0_82 Depth=1
	s_add_u32 s8, s36, 0x1000
	s_addc_u32 s9, s37, 0
	s_getpc_b64 s[16:17]
	s_add_u32 s16, s16, _Z48ncclDevFunc_AllReduce_RING_SIMPLE_Prod_u64_0_0_1v@rel32@lo+4
	s_addc_u32 s17, s17, _Z48ncclDevFunc_AllReduce_RING_SIMPLE_Prod_u64_0_0_1v@rel32@hi+12
	s_mov_b64 s[4:5], s[48:49]
	s_mov_b64 s[6:7], s[38:39]
	;; [unrolled: 1-line block ×3, first 2 shown]
	s_mov_b32 s12, s55
	s_mov_b32 s13, s54
	;; [unrolled: 1-line block ×3, first 2 shown]
	v_mov_b32_e32 v31, v40
	s_swappc_b64 s[30:31], s[16:17]
	s_mov_b64 s[4:5], 0
.LBB0_209:                              ;   in Loop: Header=BB0_82 Depth=1
	s_andn2_b64 vcc, exec, s[4:5]
	s_cbranch_vccnz .LBB0_211
; %bb.210:                              ;   in Loop: Header=BB0_82 Depth=1
	s_add_u32 s8, s36, 0x1000
	s_addc_u32 s9, s37, 0
	s_getpc_b64 s[16:17]
	s_add_u32 s16, s16, _Z48ncclDevFunc_AllReduce_RING_SIMPLE_Prod_u32_0_0_1v@rel32@lo+4
	s_addc_u32 s17, s17, _Z48ncclDevFunc_AllReduce_RING_SIMPLE_Prod_u32_0_0_1v@rel32@hi+12
	s_mov_b64 s[4:5], s[48:49]
	s_mov_b64 s[6:7], s[38:39]
	;; [unrolled: 1-line block ×3, first 2 shown]
	s_mov_b32 s12, s55
	s_mov_b32 s13, s54
	;; [unrolled: 1-line block ×3, first 2 shown]
	v_mov_b32_e32 v31, v40
	s_swappc_b64 s[30:31], s[16:17]
.LBB0_211:                              ;   in Loop: Header=BB0_82 Depth=1
	s_mov_b64 s[4:5], 0
.LBB0_212:                              ;   in Loop: Header=BB0_82 Depth=1
	s_andn2_b64 vcc, exec, s[4:5]
	s_cbranch_vccnz .LBB0_214
; %bb.213:                              ;   in Loop: Header=BB0_82 Depth=1
	s_add_u32 s8, s36, 0x1000
	s_addc_u32 s9, s37, 0
	s_getpc_b64 s[16:17]
	s_add_u32 s16, s16, _Z47ncclDevFunc_AllReduce_RING_SIMPLE_Prod_u8_0_0_1v@rel32@lo+4
	s_addc_u32 s17, s17, _Z47ncclDevFunc_AllReduce_RING_SIMPLE_Prod_u8_0_0_1v@rel32@hi+12
	s_mov_b64 s[4:5], s[48:49]
	s_mov_b64 s[6:7], s[38:39]
	;; [unrolled: 1-line block ×3, first 2 shown]
	s_mov_b32 s12, s55
	s_mov_b32 s13, s54
	;; [unrolled: 1-line block ×3, first 2 shown]
	v_mov_b32_e32 v31, v40
	s_swappc_b64 s[30:31], s[16:17]
.LBB0_214:                              ;   in Loop: Header=BB0_82 Depth=1
	s_mov_b64 s[4:5], 0
.LBB0_215:                              ;   in Loop: Header=BB0_82 Depth=1
	s_andn2_b64 vcc, exec, s[4:5]
	s_cbranch_vccnz .LBB0_256
; %bb.216:                              ;   in Loop: Header=BB0_82 Depth=1
	s_cmpk_gt_u32 s71, 0x63
	s_mov_b64 s[4:5], -1
	s_cbranch_scc0 .LBB0_233
; %bb.217:                              ;   in Loop: Header=BB0_82 Depth=1
	s_cmpk_gt_u32 s71, 0x68
	s_cbranch_scc0 .LBB0_223
; %bb.218:                              ;   in Loop: Header=BB0_82 Depth=1
	s_cmpk_gt_u32 s71, 0x6b
	s_cbranch_scc0 .LBB0_220
; %bb.219:                              ;   in Loop: Header=BB0_82 Depth=1
	s_add_u32 s8, s36, 0x1000
	s_addc_u32 s9, s37, 0
	s_getpc_b64 s[16:17]
	s_add_u32 s16, s16, _Z50ncclDevFunc_AllReduce_RING_SIMPLE_Sum_f8e5m2_0_0_1v@rel32@lo+4
	s_addc_u32 s17, s17, _Z50ncclDevFunc_AllReduce_RING_SIMPLE_Sum_f8e5m2_0_0_1v@rel32@hi+12
	s_mov_b64 s[4:5], s[48:49]
	s_mov_b64 s[6:7], s[38:39]
	;; [unrolled: 1-line block ×3, first 2 shown]
	s_mov_b32 s12, s55
	s_mov_b32 s13, s54
	;; [unrolled: 1-line block ×3, first 2 shown]
	v_mov_b32_e32 v31, v40
	s_swappc_b64 s[30:31], s[16:17]
	s_mov_b64 s[4:5], 0
.LBB0_220:                              ;   in Loop: Header=BB0_82 Depth=1
	s_andn2_b64 vcc, exec, s[4:5]
	s_cbranch_vccnz .LBB0_222
; %bb.221:                              ;   in Loop: Header=BB0_82 Depth=1
	s_add_u32 s8, s36, 0x1000
	s_addc_u32 s9, s37, 0
	s_getpc_b64 s[16:17]
	s_add_u32 s16, s16, _Z50ncclDevFunc_AllReduce_RING_SIMPLE_Sum_f8e4m3_0_0_1v@rel32@lo+4
	s_addc_u32 s17, s17, _Z50ncclDevFunc_AllReduce_RING_SIMPLE_Sum_f8e4m3_0_0_1v@rel32@hi+12
	s_mov_b64 s[4:5], s[48:49]
	s_mov_b64 s[6:7], s[38:39]
	;; [unrolled: 1-line block ×3, first 2 shown]
	s_mov_b32 s12, s55
	s_mov_b32 s13, s54
	;; [unrolled: 1-line block ×3, first 2 shown]
	v_mov_b32_e32 v31, v40
	s_swappc_b64 s[30:31], s[16:17]
.LBB0_222:                              ;   in Loop: Header=BB0_82 Depth=1
	s_mov_b64 s[4:5], 0
.LBB0_223:                              ;   in Loop: Header=BB0_82 Depth=1
	s_andn2_b64 vcc, exec, s[4:5]
	s_cbranch_vccnz .LBB0_232
; %bb.224:                              ;   in Loop: Header=BB0_82 Depth=1
	s_cmpk_gt_u32 s71, 0x65
	s_mov_b64 s[4:5], -1
	s_cbranch_scc0 .LBB0_230
; %bb.225:                              ;   in Loop: Header=BB0_82 Depth=1
	s_cmpk_eq_i32 s71, 0x68
	s_cbranch_scc1 .LBB0_227
; %bb.226:                              ;   in Loop: Header=BB0_82 Depth=1
	s_add_u32 s8, s36, 0x1000
	s_addc_u32 s9, s37, 0
	s_getpc_b64 s[16:17]
	s_add_u32 s16, s16, _Z48ncclDevFunc_AllReduce_RING_SIMPLE_Sum_bf16_0_0_1v@rel32@lo+4
	s_addc_u32 s17, s17, _Z48ncclDevFunc_AllReduce_RING_SIMPLE_Sum_bf16_0_0_1v@rel32@hi+12
	s_mov_b64 s[4:5], s[48:49]
	s_mov_b64 s[6:7], s[38:39]
	;; [unrolled: 1-line block ×3, first 2 shown]
	s_mov_b32 s12, s55
	s_mov_b32 s13, s54
	;; [unrolled: 1-line block ×3, first 2 shown]
	v_mov_b32_e32 v31, v40
	s_swappc_b64 s[30:31], s[16:17]
	s_mov_b64 s[4:5], 0
.LBB0_227:                              ;   in Loop: Header=BB0_82 Depth=1
	s_andn2_b64 vcc, exec, s[4:5]
	s_cbranch_vccnz .LBB0_229
; %bb.228:                              ;   in Loop: Header=BB0_82 Depth=1
	s_add_u32 s8, s36, 0x1000
	s_addc_u32 s9, s37, 0
	s_getpc_b64 s[16:17]
	s_add_u32 s16, s16, _Z48ncclDevFunc_AllReduce_RING_SIMPLE_Sum_bf16_0_1_1v@rel32@lo+4
	s_addc_u32 s17, s17, _Z48ncclDevFunc_AllReduce_RING_SIMPLE_Sum_bf16_0_1_1v@rel32@hi+12
	s_mov_b64 s[4:5], s[48:49]
	s_mov_b64 s[6:7], s[38:39]
	;; [unrolled: 1-line block ×3, first 2 shown]
	s_mov_b32 s12, s55
	s_mov_b32 s13, s54
	;; [unrolled: 1-line block ×3, first 2 shown]
	v_mov_b32_e32 v31, v40
	s_swappc_b64 s[30:31], s[16:17]
.LBB0_229:                              ;   in Loop: Header=BB0_82 Depth=1
	s_mov_b64 s[4:5], 0
.LBB0_230:                              ;   in Loop: Header=BB0_82 Depth=1
	s_andn2_b64 vcc, exec, s[4:5]
	s_cbranch_vccnz .LBB0_232
; %bb.231:                              ;   in Loop: Header=BB0_82 Depth=1
	s_add_u32 s8, s36, 0x1000
	s_addc_u32 s9, s37, 0
	s_getpc_b64 s[16:17]
	s_add_u32 s16, s16, _Z47ncclDevFunc_AllReduce_RING_SIMPLE_Sum_f64_0_0_1v@rel32@lo+4
	s_addc_u32 s17, s17, _Z47ncclDevFunc_AllReduce_RING_SIMPLE_Sum_f64_0_0_1v@rel32@hi+12
	s_mov_b64 s[4:5], s[48:49]
	s_mov_b64 s[6:7], s[38:39]
	s_mov_b64 s[10:11], s[34:35]
	s_mov_b32 s12, s55
	s_mov_b32 s13, s54
	;; [unrolled: 1-line block ×3, first 2 shown]
	v_mov_b32_e32 v31, v40
	s_swappc_b64 s[30:31], s[16:17]
.LBB0_232:                              ;   in Loop: Header=BB0_82 Depth=1
	s_mov_b64 s[4:5], 0
.LBB0_233:                              ;   in Loop: Header=BB0_82 Depth=1
	s_andn2_b64 vcc, exec, s[4:5]
	s_cbranch_vccnz .LBB0_256
; %bb.234:                              ;   in Loop: Header=BB0_82 Depth=1
	s_cmpk_gt_u32 s71, 0x5d
	s_mov_b64 s[4:5], -1
	s_cbranch_scc0 .LBB0_244
; %bb.235:                              ;   in Loop: Header=BB0_82 Depth=1
	s_cmpk_gt_u32 s71, 0x60
	s_cbranch_scc0 .LBB0_241
; %bb.236:                              ;   in Loop: Header=BB0_82 Depth=1
	s_cmpk_lg_i32 s71, 0x61
	s_cbranch_scc0 .LBB0_238
; %bb.237:                              ;   in Loop: Header=BB0_82 Depth=1
	s_add_u32 s8, s36, 0x1000
	s_addc_u32 s9, s37, 0
	s_getpc_b64 s[16:17]
	s_add_u32 s16, s16, _Z47ncclDevFunc_AllReduce_RING_SIMPLE_Sum_f32_0_0_1v@rel32@lo+4
	s_addc_u32 s17, s17, _Z47ncclDevFunc_AllReduce_RING_SIMPLE_Sum_f32_0_0_1v@rel32@hi+12
	s_mov_b64 s[4:5], s[48:49]
	s_mov_b64 s[6:7], s[38:39]
	;; [unrolled: 1-line block ×3, first 2 shown]
	s_mov_b32 s12, s55
	s_mov_b32 s13, s54
	;; [unrolled: 1-line block ×3, first 2 shown]
	v_mov_b32_e32 v31, v40
	s_swappc_b64 s[30:31], s[16:17]
	s_mov_b64 s[4:5], 0
.LBB0_238:                              ;   in Loop: Header=BB0_82 Depth=1
	s_andn2_b64 vcc, exec, s[4:5]
	s_cbranch_vccnz .LBB0_240
; %bb.239:                              ;   in Loop: Header=BB0_82 Depth=1
	s_add_u32 s8, s36, 0x1000
	s_addc_u32 s9, s37, 0
	s_getpc_b64 s[16:17]
	s_add_u32 s16, s16, _Z47ncclDevFunc_AllReduce_RING_SIMPLE_Sum_f16_0_0_1v@rel32@lo+4
	s_addc_u32 s17, s17, _Z47ncclDevFunc_AllReduce_RING_SIMPLE_Sum_f16_0_0_1v@rel32@hi+12
	s_mov_b64 s[4:5], s[48:49]
	s_mov_b64 s[6:7], s[38:39]
	;; [unrolled: 1-line block ×3, first 2 shown]
	s_mov_b32 s12, s55
	s_mov_b32 s13, s54
	;; [unrolled: 1-line block ×3, first 2 shown]
	v_mov_b32_e32 v31, v40
	s_swappc_b64 s[30:31], s[16:17]
.LBB0_240:                              ;   in Loop: Header=BB0_82 Depth=1
	s_mov_b64 s[4:5], 0
.LBB0_241:                              ;   in Loop: Header=BB0_82 Depth=1
	s_andn2_b64 vcc, exec, s[4:5]
	s_cbranch_vccnz .LBB0_243
; %bb.242:                              ;   in Loop: Header=BB0_82 Depth=1
	s_add_u32 s8, s36, 0x1000
	s_addc_u32 s9, s37, 0
	s_getpc_b64 s[16:17]
	s_add_u32 s16, s16, _Z47ncclDevFunc_AllReduce_RING_SIMPLE_Sum_u64_0_0_1v@rel32@lo+4
	s_addc_u32 s17, s17, _Z47ncclDevFunc_AllReduce_RING_SIMPLE_Sum_u64_0_0_1v@rel32@hi+12
	s_mov_b64 s[4:5], s[48:49]
	s_mov_b64 s[6:7], s[38:39]
	;; [unrolled: 1-line block ×3, first 2 shown]
	s_mov_b32 s12, s55
	s_mov_b32 s13, s54
	;; [unrolled: 1-line block ×3, first 2 shown]
	v_mov_b32_e32 v31, v40
	s_swappc_b64 s[30:31], s[16:17]
.LBB0_243:                              ;   in Loop: Header=BB0_82 Depth=1
	s_mov_b64 s[4:5], 0
.LBB0_244:                              ;   in Loop: Header=BB0_82 Depth=1
	s_andn2_b64 vcc, exec, s[4:5]
	s_cbranch_vccnz .LBB0_256
; %bb.245:                              ;   in Loop: Header=BB0_82 Depth=1
	s_cmpk_gt_u32 s71, 0x5a
	s_mov_b64 s[4:5], -1
	s_cbranch_scc0 .LBB0_251
; %bb.246:                              ;   in Loop: Header=BB0_82 Depth=1
	s_cmpk_lg_i32 s71, 0x5b
	s_cbranch_scc0 .LBB0_248
; %bb.247:                              ;   in Loop: Header=BB0_82 Depth=1
	s_add_u32 s8, s36, 0x1000
	s_addc_u32 s9, s37, 0
	s_getpc_b64 s[16:17]
	s_add_u32 s16, s16, _Z47ncclDevFunc_AllReduce_RING_SIMPLE_Sum_u32_0_0_1v@rel32@lo+4
	s_addc_u32 s17, s17, _Z47ncclDevFunc_AllReduce_RING_SIMPLE_Sum_u32_0_0_1v@rel32@hi+12
	s_mov_b64 s[4:5], s[48:49]
	s_mov_b64 s[6:7], s[38:39]
	s_mov_b64 s[10:11], s[34:35]
	s_mov_b32 s12, s55
	s_mov_b32 s13, s54
	;; [unrolled: 1-line block ×3, first 2 shown]
	v_mov_b32_e32 v31, v40
	s_swappc_b64 s[30:31], s[16:17]
	s_mov_b64 s[4:5], 0
.LBB0_248:                              ;   in Loop: Header=BB0_82 Depth=1
	s_andn2_b64 vcc, exec, s[4:5]
	s_cbranch_vccnz .LBB0_250
; %bb.249:                              ;   in Loop: Header=BB0_82 Depth=1
	s_add_u32 s8, s36, 0x1000
	s_addc_u32 s9, s37, 0
	s_getpc_b64 s[16:17]
	s_add_u32 s16, s16, _Z46ncclDevFunc_AllReduce_RING_SIMPLE_Sum_u8_0_0_1v@rel32@lo+4
	s_addc_u32 s17, s17, _Z46ncclDevFunc_AllReduce_RING_SIMPLE_Sum_u8_0_0_1v@rel32@hi+12
	s_mov_b64 s[4:5], s[48:49]
	s_mov_b64 s[6:7], s[38:39]
	;; [unrolled: 1-line block ×3, first 2 shown]
	s_mov_b32 s12, s55
	s_mov_b32 s13, s54
	;; [unrolled: 1-line block ×3, first 2 shown]
	v_mov_b32_e32 v31, v40
	s_swappc_b64 s[30:31], s[16:17]
.LBB0_250:                              ;   in Loop: Header=BB0_82 Depth=1
	s_mov_b64 s[4:5], 0
.LBB0_251:                              ;   in Loop: Header=BB0_82 Depth=1
	s_andn2_b64 vcc, exec, s[4:5]
	s_cbranch_vccnz .LBB0_256
; %bb.252:                              ;   in Loop: Header=BB0_82 Depth=1
	s_cmpk_eq_i32 s71, 0x5a
	s_mov_b64 s[4:5], -1
	s_cbranch_scc1 .LBB0_254
; %bb.253:                              ;   in Loop: Header=BB0_82 Depth=1
	s_add_u32 s8, s36, 0x1000
	s_addc_u32 s9, s37, 0
	s_getpc_b64 s[16:17]
	s_add_u32 s16, s16, _Z54ncclDevFunc_ReduceScatter_RING_LL_SumPostDiv_u32_0_0_1v@rel32@lo+4
	s_addc_u32 s17, s17, _Z54ncclDevFunc_ReduceScatter_RING_LL_SumPostDiv_u32_0_0_1v@rel32@hi+12
	s_mov_b64 s[4:5], s[48:49]
	s_mov_b64 s[6:7], s[38:39]
	;; [unrolled: 1-line block ×3, first 2 shown]
	s_mov_b32 s12, s55
	s_mov_b32 s13, s54
	;; [unrolled: 1-line block ×3, first 2 shown]
	v_mov_b32_e32 v31, v40
	s_swappc_b64 s[30:31], s[16:17]
	s_mov_b64 s[4:5], 0
.LBB0_254:                              ;   in Loop: Header=BB0_82 Depth=1
	s_andn2_b64 vcc, exec, s[4:5]
	s_cbranch_vccnz .LBB0_256
; %bb.255:                              ;   in Loop: Header=BB0_82 Depth=1
	s_add_u32 s8, s36, 0x1000
	s_addc_u32 s9, s37, 0
	s_getpc_b64 s[16:17]
	s_add_u32 s16, s16, _Z54ncclDevFunc_ReduceScatter_RING_LL_SumPostDiv_u64_0_0_1v@rel32@lo+4
	s_addc_u32 s17, s17, _Z54ncclDevFunc_ReduceScatter_RING_LL_SumPostDiv_u64_0_0_1v@rel32@hi+12
	s_mov_b64 s[4:5], s[48:49]
	s_mov_b64 s[6:7], s[38:39]
	;; [unrolled: 1-line block ×3, first 2 shown]
	s_mov_b32 s12, s55
	s_mov_b32 s13, s54
	;; [unrolled: 1-line block ×3, first 2 shown]
	v_mov_b32_e32 v31, v40
	s_swappc_b64 s[30:31], s[16:17]
.LBB0_256:                              ;   in Loop: Header=BB0_82 Depth=1
	s_mov_b64 s[4:5], 0
.LBB0_257:                              ;   in Loop: Header=BB0_82 Depth=1
	s_andn2_b64 vcc, exec, s[4:5]
	s_cbranch_vccnz .LBB0_568
; %bb.258:                              ;   in Loop: Header=BB0_82 Depth=1
	s_and_b32 s71, 0xffff, s70
	s_cmp_gt_u32 s71, 43
	s_mov_b64 s[4:5], -1
	s_cbranch_scc0 .LBB0_413
; %bb.259:                              ;   in Loop: Header=BB0_82 Depth=1
	s_cmpk_gt_u32 s71, 0x41
	s_cbranch_scc0 .LBB0_342
; %bb.260:                              ;   in Loop: Header=BB0_82 Depth=1
	s_cmpk_gt_u32 s71, 0x4c
	;; [unrolled: 3-line block ×4, first 2 shown]
	s_cbranch_scc0 .LBB0_272
; %bb.263:                              ;   in Loop: Header=BB0_82 Depth=1
	s_sext_i32_i16 s4, s70
	s_cmpk_lt_i32 s4, 0x57
	s_mov_b64 s[4:5], -1
	s_cbranch_scc1 .LBB0_269
; %bb.264:                              ;   in Loop: Header=BB0_82 Depth=1
	s_cmpk_lg_i32 s71, 0x57
	s_cbranch_scc0 .LBB0_266
; %bb.265:                              ;   in Loop: Header=BB0_82 Depth=1
	s_add_u32 s8, s36, 0x1000
	s_addc_u32 s9, s37, 0
	s_getpc_b64 s[16:17]
	s_add_u32 s16, s16, _Z53ncclDevFunc_ReduceScatter_RING_LL_SumPostDiv_u8_0_0_1v@rel32@lo+4
	s_addc_u32 s17, s17, _Z53ncclDevFunc_ReduceScatter_RING_LL_SumPostDiv_u8_0_0_1v@rel32@hi+12
	s_mov_b64 s[4:5], s[48:49]
	s_mov_b64 s[6:7], s[38:39]
	;; [unrolled: 1-line block ×3, first 2 shown]
	s_mov_b32 s12, s55
	s_mov_b32 s13, s54
	;; [unrolled: 1-line block ×3, first 2 shown]
	v_mov_b32_e32 v31, v40
	s_swappc_b64 s[30:31], s[16:17]
	s_mov_b64 s[4:5], 0
.LBB0_266:                              ;   in Loop: Header=BB0_82 Depth=1
	s_andn2_b64 vcc, exec, s[4:5]
	s_cbranch_vccnz .LBB0_268
; %bb.267:                              ;   in Loop: Header=BB0_82 Depth=1
	s_add_u32 s8, s36, 0x1000
	s_addc_u32 s9, s37, 0
	s_getpc_b64 s[16:17]
	s_add_u32 s16, s16, _Z56ncclDevFunc_ReduceScatter_RING_LL_PreMulSum_f8e5m2_0_0_1v@rel32@lo+4
	s_addc_u32 s17, s17, _Z56ncclDevFunc_ReduceScatter_RING_LL_PreMulSum_f8e5m2_0_0_1v@rel32@hi+12
	s_mov_b64 s[4:5], s[48:49]
	s_mov_b64 s[6:7], s[38:39]
	;; [unrolled: 1-line block ×3, first 2 shown]
	s_mov_b32 s12, s55
	s_mov_b32 s13, s54
	;; [unrolled: 1-line block ×3, first 2 shown]
	v_mov_b32_e32 v31, v40
	s_swappc_b64 s[30:31], s[16:17]
.LBB0_268:                              ;   in Loop: Header=BB0_82 Depth=1
	s_mov_b64 s[4:5], 0
.LBB0_269:                              ;   in Loop: Header=BB0_82 Depth=1
	s_andn2_b64 vcc, exec, s[4:5]
	s_cbranch_vccnz .LBB0_271
; %bb.270:                              ;   in Loop: Header=BB0_82 Depth=1
	s_add_u32 s8, s36, 0x1000
	s_addc_u32 s9, s37, 0
	s_getpc_b64 s[16:17]
	s_add_u32 s16, s16, _Z56ncclDevFunc_ReduceScatter_RING_LL_PreMulSum_f8e4m3_0_0_1v@rel32@lo+4
	s_addc_u32 s17, s17, _Z56ncclDevFunc_ReduceScatter_RING_LL_PreMulSum_f8e4m3_0_0_1v@rel32@hi+12
	s_mov_b64 s[4:5], s[48:49]
	s_mov_b64 s[6:7], s[38:39]
	s_mov_b64 s[10:11], s[34:35]
	s_mov_b32 s12, s55
	s_mov_b32 s13, s54
	;; [unrolled: 1-line block ×3, first 2 shown]
	v_mov_b32_e32 v31, v40
	s_swappc_b64 s[30:31], s[16:17]
.LBB0_271:                              ;   in Loop: Header=BB0_82 Depth=1
	s_mov_b64 s[4:5], 0
.LBB0_272:                              ;   in Loop: Header=BB0_82 Depth=1
	s_and_b64 vcc, exec, s[4:5]
	s_cbranch_vccz .LBB0_281
; %bb.273:                              ;   in Loop: Header=BB0_82 Depth=1
	s_sext_i32_i16 s4, s70
	s_cmpk_lt_i32 s4, 0x54
	s_mov_b64 s[4:5], -1
	s_cbranch_scc1 .LBB0_279
; %bb.274:                              ;   in Loop: Header=BB0_82 Depth=1
	s_cmpk_lg_i32 s71, 0x54
	s_cbranch_scc0 .LBB0_276
; %bb.275:                              ;   in Loop: Header=BB0_82 Depth=1
	s_add_u32 s8, s36, 0x1000
	s_addc_u32 s9, s37, 0
	s_getpc_b64 s[16:17]
	s_add_u32 s16, s16, _Z54ncclDevFunc_ReduceScatter_RING_LL_PreMulSum_bf16_0_0_1v@rel32@lo+4
	s_addc_u32 s17, s17, _Z54ncclDevFunc_ReduceScatter_RING_LL_PreMulSum_bf16_0_0_1v@rel32@hi+12
	s_mov_b64 s[4:5], s[48:49]
	s_mov_b64 s[6:7], s[38:39]
	;; [unrolled: 1-line block ×3, first 2 shown]
	s_mov_b32 s12, s55
	s_mov_b32 s13, s54
	;; [unrolled: 1-line block ×3, first 2 shown]
	v_mov_b32_e32 v31, v40
	s_swappc_b64 s[30:31], s[16:17]
	s_mov_b64 s[4:5], 0
.LBB0_276:                              ;   in Loop: Header=BB0_82 Depth=1
	s_andn2_b64 vcc, exec, s[4:5]
	s_cbranch_vccnz .LBB0_278
; %bb.277:                              ;   in Loop: Header=BB0_82 Depth=1
	s_add_u32 s8, s36, 0x1000
	s_addc_u32 s9, s37, 0
	s_getpc_b64 s[16:17]
	s_add_u32 s16, s16, _Z53ncclDevFunc_ReduceScatter_RING_LL_PreMulSum_f64_0_0_1v@rel32@lo+4
	s_addc_u32 s17, s17, _Z53ncclDevFunc_ReduceScatter_RING_LL_PreMulSum_f64_0_0_1v@rel32@hi+12
	s_mov_b64 s[4:5], s[48:49]
	s_mov_b64 s[6:7], s[38:39]
	;; [unrolled: 1-line block ×3, first 2 shown]
	s_mov_b32 s12, s55
	s_mov_b32 s13, s54
	;; [unrolled: 1-line block ×3, first 2 shown]
	v_mov_b32_e32 v31, v40
	s_swappc_b64 s[30:31], s[16:17]
.LBB0_278:                              ;   in Loop: Header=BB0_82 Depth=1
	s_mov_b64 s[4:5], 0
.LBB0_279:                              ;   in Loop: Header=BB0_82 Depth=1
	s_andn2_b64 vcc, exec, s[4:5]
	s_cbranch_vccnz .LBB0_281
; %bb.280:                              ;   in Loop: Header=BB0_82 Depth=1
	s_add_u32 s8, s36, 0x1000
	s_addc_u32 s9, s37, 0
	s_getpc_b64 s[16:17]
	s_add_u32 s16, s16, _Z53ncclDevFunc_ReduceScatter_RING_LL_PreMulSum_f32_0_0_1v@rel32@lo+4
	s_addc_u32 s17, s17, _Z53ncclDevFunc_ReduceScatter_RING_LL_PreMulSum_f32_0_0_1v@rel32@hi+12
	s_mov_b64 s[4:5], s[48:49]
	s_mov_b64 s[6:7], s[38:39]
	;; [unrolled: 1-line block ×3, first 2 shown]
	s_mov_b32 s12, s55
	s_mov_b32 s13, s54
	;; [unrolled: 1-line block ×3, first 2 shown]
	v_mov_b32_e32 v31, v40
	s_swappc_b64 s[30:31], s[16:17]
.LBB0_281:                              ;   in Loop: Header=BB0_82 Depth=1
	s_mov_b64 s[4:5], 0
.LBB0_282:                              ;   in Loop: Header=BB0_82 Depth=1
	s_andn2_b64 vcc, exec, s[4:5]
	s_cbranch_vccnz .LBB0_302
; %bb.283:                              ;   in Loop: Header=BB0_82 Depth=1
	s_cmpk_gt_u32 s71, 0x4f
	s_mov_b64 s[4:5], -1
	s_cbranch_scc0 .LBB0_293
; %bb.284:                              ;   in Loop: Header=BB0_82 Depth=1
	s_sext_i32_i16 s4, s70
	s_cmpk_lt_i32 s4, 0x51
	s_mov_b64 s[4:5], -1
	s_cbranch_scc1 .LBB0_290
; %bb.285:                              ;   in Loop: Header=BB0_82 Depth=1
	s_cmpk_lg_i32 s71, 0x51
	s_cbranch_scc0 .LBB0_287
; %bb.286:                              ;   in Loop: Header=BB0_82 Depth=1
	s_add_u32 s8, s36, 0x1000
	s_addc_u32 s9, s37, 0
	s_getpc_b64 s[16:17]
	s_add_u32 s16, s16, _Z53ncclDevFunc_ReduceScatter_RING_LL_PreMulSum_f16_0_0_1v@rel32@lo+4
	s_addc_u32 s17, s17, _Z53ncclDevFunc_ReduceScatter_RING_LL_PreMulSum_f16_0_0_1v@rel32@hi+12
	s_mov_b64 s[4:5], s[48:49]
	s_mov_b64 s[6:7], s[38:39]
	;; [unrolled: 1-line block ×3, first 2 shown]
	s_mov_b32 s12, s55
	s_mov_b32 s13, s54
	;; [unrolled: 1-line block ×3, first 2 shown]
	v_mov_b32_e32 v31, v40
	s_swappc_b64 s[30:31], s[16:17]
	s_mov_b64 s[4:5], 0
.LBB0_287:                              ;   in Loop: Header=BB0_82 Depth=1
	s_andn2_b64 vcc, exec, s[4:5]
	s_cbranch_vccnz .LBB0_289
; %bb.288:                              ;   in Loop: Header=BB0_82 Depth=1
	s_add_u32 s8, s36, 0x1000
	s_addc_u32 s9, s37, 0
	s_getpc_b64 s[16:17]
	s_add_u32 s16, s16, _Z53ncclDevFunc_ReduceScatter_RING_LL_PreMulSum_u64_0_0_1v@rel32@lo+4
	s_addc_u32 s17, s17, _Z53ncclDevFunc_ReduceScatter_RING_LL_PreMulSum_u64_0_0_1v@rel32@hi+12
	s_mov_b64 s[4:5], s[48:49]
	s_mov_b64 s[6:7], s[38:39]
	;; [unrolled: 1-line block ×3, first 2 shown]
	s_mov_b32 s12, s55
	s_mov_b32 s13, s54
	;; [unrolled: 1-line block ×3, first 2 shown]
	v_mov_b32_e32 v31, v40
	s_swappc_b64 s[30:31], s[16:17]
.LBB0_289:                              ;   in Loop: Header=BB0_82 Depth=1
	s_mov_b64 s[4:5], 0
.LBB0_290:                              ;   in Loop: Header=BB0_82 Depth=1
	s_andn2_b64 vcc, exec, s[4:5]
	s_cbranch_vccnz .LBB0_292
; %bb.291:                              ;   in Loop: Header=BB0_82 Depth=1
	s_add_u32 s8, s36, 0x1000
	s_addc_u32 s9, s37, 0
	s_getpc_b64 s[16:17]
	s_add_u32 s16, s16, _Z53ncclDevFunc_ReduceScatter_RING_LL_PreMulSum_u32_0_0_1v@rel32@lo+4
	s_addc_u32 s17, s17, _Z53ncclDevFunc_ReduceScatter_RING_LL_PreMulSum_u32_0_0_1v@rel32@hi+12
	s_mov_b64 s[4:5], s[48:49]
	s_mov_b64 s[6:7], s[38:39]
	;; [unrolled: 1-line block ×3, first 2 shown]
	s_mov_b32 s12, s55
	s_mov_b32 s13, s54
	;; [unrolled: 1-line block ×3, first 2 shown]
	v_mov_b32_e32 v31, v40
	s_swappc_b64 s[30:31], s[16:17]
.LBB0_292:                              ;   in Loop: Header=BB0_82 Depth=1
	s_mov_b64 s[4:5], 0
.LBB0_293:                              ;   in Loop: Header=BB0_82 Depth=1
	s_and_b64 vcc, exec, s[4:5]
	s_cbranch_vccz .LBB0_302
; %bb.294:                              ;   in Loop: Header=BB0_82 Depth=1
	s_sext_i32_i16 s4, s70
	s_cmpk_lt_i32 s4, 0x4e
	s_mov_b64 s[4:5], -1
	s_cbranch_scc1 .LBB0_300
; %bb.295:                              ;   in Loop: Header=BB0_82 Depth=1
	s_cmpk_lg_i32 s71, 0x4e
	s_cbranch_scc0 .LBB0_297
; %bb.296:                              ;   in Loop: Header=BB0_82 Depth=1
	s_add_u32 s8, s36, 0x1000
	s_addc_u32 s9, s37, 0
	s_getpc_b64 s[16:17]
	s_add_u32 s16, s16, _Z52ncclDevFunc_ReduceScatter_RING_LL_PreMulSum_u8_0_0_1v@rel32@lo+4
	s_addc_u32 s17, s17, _Z52ncclDevFunc_ReduceScatter_RING_LL_PreMulSum_u8_0_0_1v@rel32@hi+12
	s_mov_b64 s[4:5], s[48:49]
	s_mov_b64 s[6:7], s[38:39]
	;; [unrolled: 1-line block ×3, first 2 shown]
	s_mov_b32 s12, s55
	s_mov_b32 s13, s54
	;; [unrolled: 1-line block ×3, first 2 shown]
	v_mov_b32_e32 v31, v40
	s_swappc_b64 s[30:31], s[16:17]
	s_mov_b64 s[4:5], 0
.LBB0_297:                              ;   in Loop: Header=BB0_82 Depth=1
	s_andn2_b64 vcc, exec, s[4:5]
	s_cbranch_vccnz .LBB0_299
; %bb.298:                              ;   in Loop: Header=BB0_82 Depth=1
	s_add_u32 s8, s36, 0x1000
	s_addc_u32 s9, s37, 0
	s_getpc_b64 s[16:17]
	s_add_u32 s16, s16, _Z53ncclDevFunc_ReduceScatter_RING_LL_MinMax_f8e5m2_0_0_1v@rel32@lo+4
	s_addc_u32 s17, s17, _Z53ncclDevFunc_ReduceScatter_RING_LL_MinMax_f8e5m2_0_0_1v@rel32@hi+12
	s_mov_b64 s[4:5], s[48:49]
	s_mov_b64 s[6:7], s[38:39]
	s_mov_b64 s[10:11], s[34:35]
	s_mov_b32 s12, s55
	s_mov_b32 s13, s54
	;; [unrolled: 1-line block ×3, first 2 shown]
	v_mov_b32_e32 v31, v40
	s_swappc_b64 s[30:31], s[16:17]
.LBB0_299:                              ;   in Loop: Header=BB0_82 Depth=1
	s_mov_b64 s[4:5], 0
.LBB0_300:                              ;   in Loop: Header=BB0_82 Depth=1
	s_andn2_b64 vcc, exec, s[4:5]
	s_cbranch_vccnz .LBB0_302
; %bb.301:                              ;   in Loop: Header=BB0_82 Depth=1
	s_add_u32 s8, s36, 0x1000
	s_addc_u32 s9, s37, 0
	s_getpc_b64 s[16:17]
	s_add_u32 s16, s16, _Z53ncclDevFunc_ReduceScatter_RING_LL_MinMax_f8e4m3_0_0_1v@rel32@lo+4
	s_addc_u32 s17, s17, _Z53ncclDevFunc_ReduceScatter_RING_LL_MinMax_f8e4m3_0_0_1v@rel32@hi+12
	s_mov_b64 s[4:5], s[48:49]
	s_mov_b64 s[6:7], s[38:39]
	;; [unrolled: 1-line block ×3, first 2 shown]
	s_mov_b32 s12, s55
	s_mov_b32 s13, s54
	;; [unrolled: 1-line block ×3, first 2 shown]
	v_mov_b32_e32 v31, v40
	s_swappc_b64 s[30:31], s[16:17]
.LBB0_302:                              ;   in Loop: Header=BB0_82 Depth=1
	s_mov_b64 s[4:5], 0
.LBB0_303:                              ;   in Loop: Header=BB0_82 Depth=1
	s_andn2_b64 vcc, exec, s[4:5]
	s_cbranch_vccnz .LBB0_341
; %bb.304:                              ;   in Loop: Header=BB0_82 Depth=1
	s_cmpk_gt_u32 s71, 0x46
	s_mov_b64 s[4:5], -1
	s_cbranch_scc0 .LBB0_325
; %bb.305:                              ;   in Loop: Header=BB0_82 Depth=1
	s_cmpk_gt_u32 s71, 0x49
	s_cbranch_scc0 .LBB0_315
; %bb.306:                              ;   in Loop: Header=BB0_82 Depth=1
	s_sext_i32_i16 s4, s70
	s_cmpk_lt_i32 s4, 0x4b
	s_mov_b64 s[4:5], -1
	s_cbranch_scc1 .LBB0_312
; %bb.307:                              ;   in Loop: Header=BB0_82 Depth=1
	s_cmpk_lg_i32 s71, 0x4b
	s_cbranch_scc0 .LBB0_309
; %bb.308:                              ;   in Loop: Header=BB0_82 Depth=1
	s_add_u32 s8, s36, 0x1000
	s_addc_u32 s9, s37, 0
	s_getpc_b64 s[16:17]
	s_add_u32 s16, s16, _Z51ncclDevFunc_ReduceScatter_RING_LL_MinMax_bf16_0_0_1v@rel32@lo+4
	s_addc_u32 s17, s17, _Z51ncclDevFunc_ReduceScatter_RING_LL_MinMax_bf16_0_0_1v@rel32@hi+12
	s_mov_b64 s[4:5], s[48:49]
	s_mov_b64 s[6:7], s[38:39]
	s_mov_b64 s[10:11], s[34:35]
	s_mov_b32 s12, s55
	s_mov_b32 s13, s54
	;; [unrolled: 1-line block ×3, first 2 shown]
	v_mov_b32_e32 v31, v40
	s_swappc_b64 s[30:31], s[16:17]
	s_mov_b64 s[4:5], 0
.LBB0_309:                              ;   in Loop: Header=BB0_82 Depth=1
	s_andn2_b64 vcc, exec, s[4:5]
	s_cbranch_vccnz .LBB0_311
; %bb.310:                              ;   in Loop: Header=BB0_82 Depth=1
	s_add_u32 s8, s36, 0x1000
	s_addc_u32 s9, s37, 0
	s_getpc_b64 s[16:17]
	s_add_u32 s16, s16, _Z50ncclDevFunc_ReduceScatter_RING_LL_MinMax_f64_0_0_1v@rel32@lo+4
	s_addc_u32 s17, s17, _Z50ncclDevFunc_ReduceScatter_RING_LL_MinMax_f64_0_0_1v@rel32@hi+12
	s_mov_b64 s[4:5], s[48:49]
	s_mov_b64 s[6:7], s[38:39]
	;; [unrolled: 1-line block ×3, first 2 shown]
	s_mov_b32 s12, s55
	s_mov_b32 s13, s54
	;; [unrolled: 1-line block ×3, first 2 shown]
	v_mov_b32_e32 v31, v40
	s_swappc_b64 s[30:31], s[16:17]
.LBB0_311:                              ;   in Loop: Header=BB0_82 Depth=1
	s_mov_b64 s[4:5], 0
.LBB0_312:                              ;   in Loop: Header=BB0_82 Depth=1
	s_andn2_b64 vcc, exec, s[4:5]
	s_cbranch_vccnz .LBB0_314
; %bb.313:                              ;   in Loop: Header=BB0_82 Depth=1
	s_add_u32 s8, s36, 0x1000
	s_addc_u32 s9, s37, 0
	s_getpc_b64 s[16:17]
	s_add_u32 s16, s16, _Z50ncclDevFunc_ReduceScatter_RING_LL_MinMax_f32_0_0_1v@rel32@lo+4
	s_addc_u32 s17, s17, _Z50ncclDevFunc_ReduceScatter_RING_LL_MinMax_f32_0_0_1v@rel32@hi+12
	s_mov_b64 s[4:5], s[48:49]
	s_mov_b64 s[6:7], s[38:39]
	;; [unrolled: 1-line block ×3, first 2 shown]
	s_mov_b32 s12, s55
	s_mov_b32 s13, s54
	;; [unrolled: 1-line block ×3, first 2 shown]
	v_mov_b32_e32 v31, v40
	s_swappc_b64 s[30:31], s[16:17]
.LBB0_314:                              ;   in Loop: Header=BB0_82 Depth=1
	s_mov_b64 s[4:5], 0
.LBB0_315:                              ;   in Loop: Header=BB0_82 Depth=1
	s_and_b64 vcc, exec, s[4:5]
	s_cbranch_vccz .LBB0_324
; %bb.316:                              ;   in Loop: Header=BB0_82 Depth=1
	s_sext_i32_i16 s4, s70
	s_cmpk_lt_i32 s4, 0x48
	s_mov_b64 s[4:5], -1
	s_cbranch_scc1 .LBB0_322
; %bb.317:                              ;   in Loop: Header=BB0_82 Depth=1
	s_cmpk_lg_i32 s71, 0x48
	s_cbranch_scc0 .LBB0_319
; %bb.318:                              ;   in Loop: Header=BB0_82 Depth=1
	s_add_u32 s8, s36, 0x1000
	s_addc_u32 s9, s37, 0
	s_getpc_b64 s[16:17]
	s_add_u32 s16, s16, _Z50ncclDevFunc_ReduceScatter_RING_LL_MinMax_f16_0_0_1v@rel32@lo+4
	s_addc_u32 s17, s17, _Z50ncclDevFunc_ReduceScatter_RING_LL_MinMax_f16_0_0_1v@rel32@hi+12
	s_mov_b64 s[4:5], s[48:49]
	s_mov_b64 s[6:7], s[38:39]
	s_mov_b64 s[10:11], s[34:35]
	s_mov_b32 s12, s55
	s_mov_b32 s13, s54
	;; [unrolled: 1-line block ×3, first 2 shown]
	v_mov_b32_e32 v31, v40
	s_swappc_b64 s[30:31], s[16:17]
	s_mov_b64 s[4:5], 0
.LBB0_319:                              ;   in Loop: Header=BB0_82 Depth=1
	s_andn2_b64 vcc, exec, s[4:5]
	s_cbranch_vccnz .LBB0_321
; %bb.320:                              ;   in Loop: Header=BB0_82 Depth=1
	s_add_u32 s8, s36, 0x1000
	s_addc_u32 s9, s37, 0
	s_getpc_b64 s[16:17]
	s_add_u32 s16, s16, _Z50ncclDevFunc_ReduceScatter_RING_LL_MinMax_u64_0_0_1v@rel32@lo+4
	s_addc_u32 s17, s17, _Z50ncclDevFunc_ReduceScatter_RING_LL_MinMax_u64_0_0_1v@rel32@hi+12
	s_mov_b64 s[4:5], s[48:49]
	s_mov_b64 s[6:7], s[38:39]
	;; [unrolled: 1-line block ×3, first 2 shown]
	s_mov_b32 s12, s55
	s_mov_b32 s13, s54
	;; [unrolled: 1-line block ×3, first 2 shown]
	v_mov_b32_e32 v31, v40
	s_swappc_b64 s[30:31], s[16:17]
.LBB0_321:                              ;   in Loop: Header=BB0_82 Depth=1
	s_mov_b64 s[4:5], 0
.LBB0_322:                              ;   in Loop: Header=BB0_82 Depth=1
	s_andn2_b64 vcc, exec, s[4:5]
	s_cbranch_vccnz .LBB0_324
; %bb.323:                              ;   in Loop: Header=BB0_82 Depth=1
	s_add_u32 s8, s36, 0x1000
	s_addc_u32 s9, s37, 0
	s_getpc_b64 s[16:17]
	s_add_u32 s16, s16, _Z50ncclDevFunc_ReduceScatter_RING_LL_MinMax_u32_0_0_1v@rel32@lo+4
	s_addc_u32 s17, s17, _Z50ncclDevFunc_ReduceScatter_RING_LL_MinMax_u32_0_0_1v@rel32@hi+12
	s_mov_b64 s[4:5], s[48:49]
	s_mov_b64 s[6:7], s[38:39]
	;; [unrolled: 1-line block ×3, first 2 shown]
	s_mov_b32 s12, s55
	s_mov_b32 s13, s54
	;; [unrolled: 1-line block ×3, first 2 shown]
	v_mov_b32_e32 v31, v40
	s_swappc_b64 s[30:31], s[16:17]
.LBB0_324:                              ;   in Loop: Header=BB0_82 Depth=1
	s_mov_b64 s[4:5], 0
.LBB0_325:                              ;   in Loop: Header=BB0_82 Depth=1
	s_andn2_b64 vcc, exec, s[4:5]
	s_cbranch_vccnz .LBB0_341
; %bb.326:                              ;   in Loop: Header=BB0_82 Depth=1
	s_cmpk_gt_u32 s71, 0x43
	s_mov_b64 s[4:5], -1
	s_cbranch_scc0 .LBB0_336
; %bb.327:                              ;   in Loop: Header=BB0_82 Depth=1
	s_sext_i32_i16 s4, s70
	s_cmpk_lt_i32 s4, 0x45
	s_mov_b64 s[4:5], -1
	s_cbranch_scc1 .LBB0_333
; %bb.328:                              ;   in Loop: Header=BB0_82 Depth=1
	s_cmpk_lg_i32 s71, 0x45
	s_cbranch_scc0 .LBB0_330
; %bb.329:                              ;   in Loop: Header=BB0_82 Depth=1
	s_add_u32 s8, s36, 0x1000
	s_addc_u32 s9, s37, 0
	s_getpc_b64 s[16:17]
	s_add_u32 s16, s16, _Z49ncclDevFunc_ReduceScatter_RING_LL_MinMax_u8_0_0_1v@rel32@lo+4
	s_addc_u32 s17, s17, _Z49ncclDevFunc_ReduceScatter_RING_LL_MinMax_u8_0_0_1v@rel32@hi+12
	s_mov_b64 s[4:5], s[48:49]
	s_mov_b64 s[6:7], s[38:39]
	;; [unrolled: 1-line block ×3, first 2 shown]
	s_mov_b32 s12, s55
	s_mov_b32 s13, s54
	;; [unrolled: 1-line block ×3, first 2 shown]
	v_mov_b32_e32 v31, v40
	s_swappc_b64 s[30:31], s[16:17]
	s_mov_b64 s[4:5], 0
.LBB0_330:                              ;   in Loop: Header=BB0_82 Depth=1
	s_andn2_b64 vcc, exec, s[4:5]
	s_cbranch_vccnz .LBB0_332
; %bb.331:                              ;   in Loop: Header=BB0_82 Depth=1
	s_add_u32 s8, s36, 0x1000
	s_addc_u32 s9, s37, 0
	s_getpc_b64 s[16:17]
	s_add_u32 s16, s16, _Z51ncclDevFunc_ReduceScatter_RING_LL_Prod_f8e5m2_0_0_1v@rel32@lo+4
	s_addc_u32 s17, s17, _Z51ncclDevFunc_ReduceScatter_RING_LL_Prod_f8e5m2_0_0_1v@rel32@hi+12
	s_mov_b64 s[4:5], s[48:49]
	s_mov_b64 s[6:7], s[38:39]
	;; [unrolled: 1-line block ×3, first 2 shown]
	s_mov_b32 s12, s55
	s_mov_b32 s13, s54
	;; [unrolled: 1-line block ×3, first 2 shown]
	v_mov_b32_e32 v31, v40
	s_swappc_b64 s[30:31], s[16:17]
.LBB0_332:                              ;   in Loop: Header=BB0_82 Depth=1
	s_mov_b64 s[4:5], 0
.LBB0_333:                              ;   in Loop: Header=BB0_82 Depth=1
	s_andn2_b64 vcc, exec, s[4:5]
	s_cbranch_vccnz .LBB0_335
; %bb.334:                              ;   in Loop: Header=BB0_82 Depth=1
	s_add_u32 s8, s36, 0x1000
	s_addc_u32 s9, s37, 0
	s_getpc_b64 s[16:17]
	s_add_u32 s16, s16, _Z51ncclDevFunc_ReduceScatter_RING_LL_Prod_f8e4m3_0_0_1v@rel32@lo+4
	s_addc_u32 s17, s17, _Z51ncclDevFunc_ReduceScatter_RING_LL_Prod_f8e4m3_0_0_1v@rel32@hi+12
	s_mov_b64 s[4:5], s[48:49]
	s_mov_b64 s[6:7], s[38:39]
	s_mov_b64 s[10:11], s[34:35]
	s_mov_b32 s12, s55
	s_mov_b32 s13, s54
	;; [unrolled: 1-line block ×3, first 2 shown]
	v_mov_b32_e32 v31, v40
	s_swappc_b64 s[30:31], s[16:17]
.LBB0_335:                              ;   in Loop: Header=BB0_82 Depth=1
	s_mov_b64 s[4:5], 0
.LBB0_336:                              ;   in Loop: Header=BB0_82 Depth=1
	s_and_b64 vcc, exec, s[4:5]
	s_cbranch_vccz .LBB0_341
; %bb.337:                              ;   in Loop: Header=BB0_82 Depth=1
	s_cmpk_eq_i32 s71, 0x43
	s_mov_b64 s[4:5], -1
	s_cbranch_scc1 .LBB0_339
; %bb.338:                              ;   in Loop: Header=BB0_82 Depth=1
	s_add_u32 s8, s36, 0x1000
	s_addc_u32 s9, s37, 0
	s_getpc_b64 s[16:17]
	s_add_u32 s16, s16, _Z48ncclDevFunc_ReduceScatter_RING_LL_Prod_f64_0_0_1v@rel32@lo+4
	s_addc_u32 s17, s17, _Z48ncclDevFunc_ReduceScatter_RING_LL_Prod_f64_0_0_1v@rel32@hi+12
	s_mov_b64 s[4:5], s[48:49]
	s_mov_b64 s[6:7], s[38:39]
	;; [unrolled: 1-line block ×3, first 2 shown]
	s_mov_b32 s12, s55
	s_mov_b32 s13, s54
	;; [unrolled: 1-line block ×3, first 2 shown]
	v_mov_b32_e32 v31, v40
	s_swappc_b64 s[30:31], s[16:17]
	s_mov_b64 s[4:5], 0
.LBB0_339:                              ;   in Loop: Header=BB0_82 Depth=1
	s_andn2_b64 vcc, exec, s[4:5]
	s_cbranch_vccnz .LBB0_341
; %bb.340:                              ;   in Loop: Header=BB0_82 Depth=1
	s_add_u32 s8, s36, 0x1000
	s_addc_u32 s9, s37, 0
	s_getpc_b64 s[16:17]
	s_add_u32 s16, s16, _Z49ncclDevFunc_ReduceScatter_RING_LL_Prod_bf16_0_0_1v@rel32@lo+4
	s_addc_u32 s17, s17, _Z49ncclDevFunc_ReduceScatter_RING_LL_Prod_bf16_0_0_1v@rel32@hi+12
	s_mov_b64 s[4:5], s[48:49]
	s_mov_b64 s[6:7], s[38:39]
	;; [unrolled: 1-line block ×3, first 2 shown]
	s_mov_b32 s12, s55
	s_mov_b32 s13, s54
	;; [unrolled: 1-line block ×3, first 2 shown]
	v_mov_b32_e32 v31, v40
	s_swappc_b64 s[30:31], s[16:17]
.LBB0_341:                              ;   in Loop: Header=BB0_82 Depth=1
	s_mov_b64 s[4:5], 0
.LBB0_342:                              ;   in Loop: Header=BB0_82 Depth=1
	s_andn2_b64 vcc, exec, s[4:5]
	s_cbranch_vccnz .LBB0_412
; %bb.343:                              ;   in Loop: Header=BB0_82 Depth=1
	s_cmp_gt_u32 s71, 54
	s_mov_b64 s[4:5], -1
	s_cbranch_scc0 .LBB0_382
; %bb.344:                              ;   in Loop: Header=BB0_82 Depth=1
	s_cmp_gt_u32 s71, 59
	s_cbranch_scc0 .LBB0_365
; %bb.345:                              ;   in Loop: Header=BB0_82 Depth=1
	s_cmp_gt_u32 s71, 62
	s_cbranch_scc0 .LBB0_355
; %bb.346:                              ;   in Loop: Header=BB0_82 Depth=1
	s_sext_i32_i16 s4, s70
	s_cmp_lt_i32 s4, 64
	s_mov_b64 s[4:5], -1
	s_cbranch_scc1 .LBB0_352
; %bb.347:                              ;   in Loop: Header=BB0_82 Depth=1
	s_cmp_lg_u32 s71, 64
	s_cbranch_scc0 .LBB0_349
; %bb.348:                              ;   in Loop: Header=BB0_82 Depth=1
	s_add_u32 s8, s36, 0x1000
	s_addc_u32 s9, s37, 0
	s_getpc_b64 s[16:17]
	s_add_u32 s16, s16, _Z48ncclDevFunc_ReduceScatter_RING_LL_Prod_f32_0_0_1v@rel32@lo+4
	s_addc_u32 s17, s17, _Z48ncclDevFunc_ReduceScatter_RING_LL_Prod_f32_0_0_1v@rel32@hi+12
	s_mov_b64 s[4:5], s[48:49]
	s_mov_b64 s[6:7], s[38:39]
	;; [unrolled: 1-line block ×3, first 2 shown]
	s_mov_b32 s12, s55
	s_mov_b32 s13, s54
	;; [unrolled: 1-line block ×3, first 2 shown]
	v_mov_b32_e32 v31, v40
	s_swappc_b64 s[30:31], s[16:17]
	s_mov_b64 s[4:5], 0
.LBB0_349:                              ;   in Loop: Header=BB0_82 Depth=1
	s_andn2_b64 vcc, exec, s[4:5]
	s_cbranch_vccnz .LBB0_351
; %bb.350:                              ;   in Loop: Header=BB0_82 Depth=1
	s_add_u32 s8, s36, 0x1000
	s_addc_u32 s9, s37, 0
	s_getpc_b64 s[16:17]
	s_add_u32 s16, s16, _Z48ncclDevFunc_ReduceScatter_RING_LL_Prod_f16_0_0_1v@rel32@lo+4
	s_addc_u32 s17, s17, _Z48ncclDevFunc_ReduceScatter_RING_LL_Prod_f16_0_0_1v@rel32@hi+12
	s_mov_b64 s[4:5], s[48:49]
	s_mov_b64 s[6:7], s[38:39]
	;; [unrolled: 1-line block ×3, first 2 shown]
	s_mov_b32 s12, s55
	s_mov_b32 s13, s54
	;; [unrolled: 1-line block ×3, first 2 shown]
	v_mov_b32_e32 v31, v40
	s_swappc_b64 s[30:31], s[16:17]
.LBB0_351:                              ;   in Loop: Header=BB0_82 Depth=1
	s_mov_b64 s[4:5], 0
.LBB0_352:                              ;   in Loop: Header=BB0_82 Depth=1
	s_andn2_b64 vcc, exec, s[4:5]
	s_cbranch_vccnz .LBB0_354
; %bb.353:                              ;   in Loop: Header=BB0_82 Depth=1
	s_add_u32 s8, s36, 0x1000
	s_addc_u32 s9, s37, 0
	s_getpc_b64 s[16:17]
	s_add_u32 s16, s16, _Z48ncclDevFunc_ReduceScatter_RING_LL_Prod_u64_0_0_1v@rel32@lo+4
	s_addc_u32 s17, s17, _Z48ncclDevFunc_ReduceScatter_RING_LL_Prod_u64_0_0_1v@rel32@hi+12
	s_mov_b64 s[4:5], s[48:49]
	s_mov_b64 s[6:7], s[38:39]
	;; [unrolled: 1-line block ×3, first 2 shown]
	s_mov_b32 s12, s55
	s_mov_b32 s13, s54
	;; [unrolled: 1-line block ×3, first 2 shown]
	v_mov_b32_e32 v31, v40
	s_swappc_b64 s[30:31], s[16:17]
.LBB0_354:                              ;   in Loop: Header=BB0_82 Depth=1
	s_mov_b64 s[4:5], 0
.LBB0_355:                              ;   in Loop: Header=BB0_82 Depth=1
	s_and_b64 vcc, exec, s[4:5]
	s_cbranch_vccz .LBB0_364
; %bb.356:                              ;   in Loop: Header=BB0_82 Depth=1
	s_sext_i32_i16 s4, s70
	s_cmp_lt_i32 s4, 61
	s_mov_b64 s[4:5], -1
	s_cbranch_scc1 .LBB0_362
; %bb.357:                              ;   in Loop: Header=BB0_82 Depth=1
	s_cmp_lg_u32 s71, 61
	s_cbranch_scc0 .LBB0_359
; %bb.358:                              ;   in Loop: Header=BB0_82 Depth=1
	s_add_u32 s8, s36, 0x1000
	s_addc_u32 s9, s37, 0
	s_getpc_b64 s[16:17]
	s_add_u32 s16, s16, _Z48ncclDevFunc_ReduceScatter_RING_LL_Prod_u32_0_0_1v@rel32@lo+4
	s_addc_u32 s17, s17, _Z48ncclDevFunc_ReduceScatter_RING_LL_Prod_u32_0_0_1v@rel32@hi+12
	s_mov_b64 s[4:5], s[48:49]
	s_mov_b64 s[6:7], s[38:39]
	;; [unrolled: 1-line block ×3, first 2 shown]
	s_mov_b32 s12, s55
	s_mov_b32 s13, s54
	;; [unrolled: 1-line block ×3, first 2 shown]
	v_mov_b32_e32 v31, v40
	s_swappc_b64 s[30:31], s[16:17]
	s_mov_b64 s[4:5], 0
.LBB0_359:                              ;   in Loop: Header=BB0_82 Depth=1
	s_andn2_b64 vcc, exec, s[4:5]
	s_cbranch_vccnz .LBB0_361
; %bb.360:                              ;   in Loop: Header=BB0_82 Depth=1
	s_add_u32 s8, s36, 0x1000
	s_addc_u32 s9, s37, 0
	s_getpc_b64 s[16:17]
	s_add_u32 s16, s16, _Z47ncclDevFunc_ReduceScatter_RING_LL_Prod_u8_0_0_1v@rel32@lo+4
	s_addc_u32 s17, s17, _Z47ncclDevFunc_ReduceScatter_RING_LL_Prod_u8_0_0_1v@rel32@hi+12
	s_mov_b64 s[4:5], s[48:49]
	s_mov_b64 s[6:7], s[38:39]
	;; [unrolled: 1-line block ×3, first 2 shown]
	s_mov_b32 s12, s55
	s_mov_b32 s13, s54
	;; [unrolled: 1-line block ×3, first 2 shown]
	v_mov_b32_e32 v31, v40
	s_swappc_b64 s[30:31], s[16:17]
.LBB0_361:                              ;   in Loop: Header=BB0_82 Depth=1
	s_mov_b64 s[4:5], 0
.LBB0_362:                              ;   in Loop: Header=BB0_82 Depth=1
	s_andn2_b64 vcc, exec, s[4:5]
	s_cbranch_vccnz .LBB0_364
; %bb.363:                              ;   in Loop: Header=BB0_82 Depth=1
	s_add_u32 s8, s36, 0x1000
	s_addc_u32 s9, s37, 0
	s_getpc_b64 s[16:17]
	s_add_u32 s16, s16, _Z50ncclDevFunc_ReduceScatter_RING_LL_Sum_f8e5m2_0_0_1v@rel32@lo+4
	s_addc_u32 s17, s17, _Z50ncclDevFunc_ReduceScatter_RING_LL_Sum_f8e5m2_0_0_1v@rel32@hi+12
	s_mov_b64 s[4:5], s[48:49]
	s_mov_b64 s[6:7], s[38:39]
	;; [unrolled: 1-line block ×3, first 2 shown]
	s_mov_b32 s12, s55
	s_mov_b32 s13, s54
	s_mov_b32 s14, s33
	v_mov_b32_e32 v31, v40
	s_swappc_b64 s[30:31], s[16:17]
.LBB0_364:                              ;   in Loop: Header=BB0_82 Depth=1
	s_mov_b64 s[4:5], 0
.LBB0_365:                              ;   in Loop: Header=BB0_82 Depth=1
	s_andn2_b64 vcc, exec, s[4:5]
	s_cbranch_vccnz .LBB0_381
; %bb.366:                              ;   in Loop: Header=BB0_82 Depth=1
	s_cmp_gt_u32 s71, 56
	s_mov_b64 s[4:5], -1
	s_cbranch_scc0 .LBB0_376
; %bb.367:                              ;   in Loop: Header=BB0_82 Depth=1
	s_sext_i32_i16 s4, s70
	s_cmp_lt_i32 s4, 58
	s_mov_b64 s[4:5], -1
	s_cbranch_scc1 .LBB0_373
; %bb.368:                              ;   in Loop: Header=BB0_82 Depth=1
	s_cmp_lg_u32 s71, 58
	s_cbranch_scc0 .LBB0_370
; %bb.369:                              ;   in Loop: Header=BB0_82 Depth=1
	s_add_u32 s8, s36, 0x1000
	s_addc_u32 s9, s37, 0
	s_getpc_b64 s[16:17]
	s_add_u32 s16, s16, _Z50ncclDevFunc_ReduceScatter_RING_LL_Sum_f8e4m3_0_0_1v@rel32@lo+4
	s_addc_u32 s17, s17, _Z50ncclDevFunc_ReduceScatter_RING_LL_Sum_f8e4m3_0_0_1v@rel32@hi+12
	s_mov_b64 s[4:5], s[48:49]
	s_mov_b64 s[6:7], s[38:39]
	;; [unrolled: 1-line block ×3, first 2 shown]
	s_mov_b32 s12, s55
	s_mov_b32 s13, s54
	;; [unrolled: 1-line block ×3, first 2 shown]
	v_mov_b32_e32 v31, v40
	s_swappc_b64 s[30:31], s[16:17]
	s_mov_b64 s[4:5], 0
.LBB0_370:                              ;   in Loop: Header=BB0_82 Depth=1
	s_andn2_b64 vcc, exec, s[4:5]
	s_cbranch_vccnz .LBB0_372
; %bb.371:                              ;   in Loop: Header=BB0_82 Depth=1
	s_add_u32 s8, s36, 0x1000
	s_addc_u32 s9, s37, 0
	s_getpc_b64 s[16:17]
	s_add_u32 s16, s16, _Z48ncclDevFunc_ReduceScatter_RING_LL_Sum_bf16_0_0_1v@rel32@lo+4
	s_addc_u32 s17, s17, _Z48ncclDevFunc_ReduceScatter_RING_LL_Sum_bf16_0_0_1v@rel32@hi+12
	s_mov_b64 s[4:5], s[48:49]
	s_mov_b64 s[6:7], s[38:39]
	;; [unrolled: 1-line block ×3, first 2 shown]
	s_mov_b32 s12, s55
	s_mov_b32 s13, s54
	;; [unrolled: 1-line block ×3, first 2 shown]
	v_mov_b32_e32 v31, v40
	s_swappc_b64 s[30:31], s[16:17]
.LBB0_372:                              ;   in Loop: Header=BB0_82 Depth=1
	s_mov_b64 s[4:5], 0
.LBB0_373:                              ;   in Loop: Header=BB0_82 Depth=1
	s_andn2_b64 vcc, exec, s[4:5]
	s_cbranch_vccnz .LBB0_375
; %bb.374:                              ;   in Loop: Header=BB0_82 Depth=1
	s_add_u32 s8, s36, 0x1000
	s_addc_u32 s9, s37, 0
	s_getpc_b64 s[16:17]
	s_add_u32 s16, s16, _Z47ncclDevFunc_ReduceScatter_RING_LL_Sum_f64_0_0_1v@rel32@lo+4
	s_addc_u32 s17, s17, _Z47ncclDevFunc_ReduceScatter_RING_LL_Sum_f64_0_0_1v@rel32@hi+12
	s_mov_b64 s[4:5], s[48:49]
	s_mov_b64 s[6:7], s[38:39]
	;; [unrolled: 1-line block ×3, first 2 shown]
	s_mov_b32 s12, s55
	s_mov_b32 s13, s54
	;; [unrolled: 1-line block ×3, first 2 shown]
	v_mov_b32_e32 v31, v40
	s_swappc_b64 s[30:31], s[16:17]
.LBB0_375:                              ;   in Loop: Header=BB0_82 Depth=1
	s_mov_b64 s[4:5], 0
.LBB0_376:                              ;   in Loop: Header=BB0_82 Depth=1
	s_and_b64 vcc, exec, s[4:5]
	s_cbranch_vccz .LBB0_381
; %bb.377:                              ;   in Loop: Header=BB0_82 Depth=1
	s_cmp_eq_u32 s71, 56
	s_mov_b64 s[4:5], -1
	s_cbranch_scc1 .LBB0_379
; %bb.378:                              ;   in Loop: Header=BB0_82 Depth=1
	s_add_u32 s8, s36, 0x1000
	s_addc_u32 s9, s37, 0
	s_getpc_b64 s[16:17]
	s_add_u32 s16, s16, _Z47ncclDevFunc_ReduceScatter_RING_LL_Sum_f16_0_0_1v@rel32@lo+4
	s_addc_u32 s17, s17, _Z47ncclDevFunc_ReduceScatter_RING_LL_Sum_f16_0_0_1v@rel32@hi+12
	s_mov_b64 s[4:5], s[48:49]
	s_mov_b64 s[6:7], s[38:39]
	s_mov_b64 s[10:11], s[34:35]
	s_mov_b32 s12, s55
	s_mov_b32 s13, s54
	;; [unrolled: 1-line block ×3, first 2 shown]
	v_mov_b32_e32 v31, v40
	s_swappc_b64 s[30:31], s[16:17]
	s_mov_b64 s[4:5], 0
.LBB0_379:                              ;   in Loop: Header=BB0_82 Depth=1
	s_andn2_b64 vcc, exec, s[4:5]
	s_cbranch_vccnz .LBB0_381
; %bb.380:                              ;   in Loop: Header=BB0_82 Depth=1
	s_add_u32 s8, s36, 0x1000
	s_addc_u32 s9, s37, 0
	s_getpc_b64 s[16:17]
	s_add_u32 s16, s16, _Z47ncclDevFunc_ReduceScatter_RING_LL_Sum_f32_0_0_1v@rel32@lo+4
	s_addc_u32 s17, s17, _Z47ncclDevFunc_ReduceScatter_RING_LL_Sum_f32_0_0_1v@rel32@hi+12
	s_mov_b64 s[4:5], s[48:49]
	s_mov_b64 s[6:7], s[38:39]
	;; [unrolled: 1-line block ×3, first 2 shown]
	s_mov_b32 s12, s55
	s_mov_b32 s13, s54
	;; [unrolled: 1-line block ×3, first 2 shown]
	v_mov_b32_e32 v31, v40
	s_swappc_b64 s[30:31], s[16:17]
.LBB0_381:                              ;   in Loop: Header=BB0_82 Depth=1
	s_mov_b64 s[4:5], 0
.LBB0_382:                              ;   in Loop: Header=BB0_82 Depth=1
	s_andn2_b64 vcc, exec, s[4:5]
	s_cbranch_vccnz .LBB0_412
; %bb.383:                              ;   in Loop: Header=BB0_82 Depth=1
	s_cmp_gt_u32 s71, 48
	s_mov_b64 s[4:5], -1
	s_cbranch_scc0 .LBB0_400
; %bb.384:                              ;   in Loop: Header=BB0_82 Depth=1
	s_cmp_gt_u32 s71, 51
	s_cbranch_scc0 .LBB0_394
; %bb.385:                              ;   in Loop: Header=BB0_82 Depth=1
	s_sext_i32_i16 s4, s70
	s_cmp_lt_i32 s4, 53
	s_mov_b64 s[4:5], -1
	s_cbranch_scc1 .LBB0_391
; %bb.386:                              ;   in Loop: Header=BB0_82 Depth=1
	s_cmp_lg_u32 s71, 53
	s_cbranch_scc0 .LBB0_388
; %bb.387:                              ;   in Loop: Header=BB0_82 Depth=1
	s_add_u32 s8, s36, 0x1000
	s_addc_u32 s9, s37, 0
	s_getpc_b64 s[16:17]
	s_add_u32 s16, s16, _Z47ncclDevFunc_ReduceScatter_RING_LL_Sum_u64_0_0_1v@rel32@lo+4
	s_addc_u32 s17, s17, _Z47ncclDevFunc_ReduceScatter_RING_LL_Sum_u64_0_0_1v@rel32@hi+12
	s_mov_b64 s[4:5], s[48:49]
	s_mov_b64 s[6:7], s[38:39]
	;; [unrolled: 1-line block ×3, first 2 shown]
	s_mov_b32 s12, s55
	s_mov_b32 s13, s54
	;; [unrolled: 1-line block ×3, first 2 shown]
	v_mov_b32_e32 v31, v40
	s_swappc_b64 s[30:31], s[16:17]
	s_mov_b64 s[4:5], 0
.LBB0_388:                              ;   in Loop: Header=BB0_82 Depth=1
	s_andn2_b64 vcc, exec, s[4:5]
	s_cbranch_vccnz .LBB0_390
; %bb.389:                              ;   in Loop: Header=BB0_82 Depth=1
	s_add_u32 s8, s36, 0x1000
	s_addc_u32 s9, s37, 0
	s_getpc_b64 s[16:17]
	s_add_u32 s16, s16, _Z47ncclDevFunc_ReduceScatter_RING_LL_Sum_u32_0_0_1v@rel32@lo+4
	s_addc_u32 s17, s17, _Z47ncclDevFunc_ReduceScatter_RING_LL_Sum_u32_0_0_1v@rel32@hi+12
	s_mov_b64 s[4:5], s[48:49]
	s_mov_b64 s[6:7], s[38:39]
	;; [unrolled: 1-line block ×3, first 2 shown]
	s_mov_b32 s12, s55
	s_mov_b32 s13, s54
	;; [unrolled: 1-line block ×3, first 2 shown]
	v_mov_b32_e32 v31, v40
	s_swappc_b64 s[30:31], s[16:17]
.LBB0_390:                              ;   in Loop: Header=BB0_82 Depth=1
	s_mov_b64 s[4:5], 0
.LBB0_391:                              ;   in Loop: Header=BB0_82 Depth=1
	s_andn2_b64 vcc, exec, s[4:5]
	s_cbranch_vccnz .LBB0_393
; %bb.392:                              ;   in Loop: Header=BB0_82 Depth=1
	s_add_u32 s8, s36, 0x1000
	s_addc_u32 s9, s37, 0
	s_getpc_b64 s[16:17]
	s_add_u32 s16, s16, _Z46ncclDevFunc_ReduceScatter_RING_LL_Sum_u8_0_0_1v@rel32@lo+4
	s_addc_u32 s17, s17, _Z46ncclDevFunc_ReduceScatter_RING_LL_Sum_u8_0_0_1v@rel32@hi+12
	s_mov_b64 s[4:5], s[48:49]
	s_mov_b64 s[6:7], s[38:39]
	;; [unrolled: 1-line block ×3, first 2 shown]
	s_mov_b32 s12, s55
	s_mov_b32 s13, s54
	;; [unrolled: 1-line block ×3, first 2 shown]
	v_mov_b32_e32 v31, v40
	s_swappc_b64 s[30:31], s[16:17]
.LBB0_393:                              ;   in Loop: Header=BB0_82 Depth=1
	s_mov_b64 s[4:5], 0
.LBB0_394:                              ;   in Loop: Header=BB0_82 Depth=1
	s_and_b64 vcc, exec, s[4:5]
	s_cbranch_vccz .LBB0_399
; %bb.395:                              ;   in Loop: Header=BB0_82 Depth=1
	s_cmp_lg_u32 s71, 49
	s_mov_b64 s[4:5], -1
	s_cbranch_scc0 .LBB0_397
; %bb.396:                              ;   in Loop: Header=BB0_82 Depth=1
	s_add_u32 s8, s36, 0x1000
	s_addc_u32 s9, s37, 0
	s_getpc_b64 s[16:17]
	s_add_u32 s16, s16, _Z45ncclDevFunc_AllGather_PAT_SIMPLE_Sum_i8_0_0_1v@rel32@lo+4
	s_addc_u32 s17, s17, _Z45ncclDevFunc_AllGather_PAT_SIMPLE_Sum_i8_0_0_1v@rel32@hi+12
	s_mov_b64 s[4:5], s[48:49]
	s_mov_b64 s[6:7], s[38:39]
	;; [unrolled: 1-line block ×3, first 2 shown]
	s_mov_b32 s12, s55
	s_mov_b32 s13, s54
	;; [unrolled: 1-line block ×3, first 2 shown]
	v_mov_b32_e32 v31, v40
	s_swappc_b64 s[30:31], s[16:17]
	s_mov_b64 s[4:5], 0
.LBB0_397:                              ;   in Loop: Header=BB0_82 Depth=1
	s_andn2_b64 vcc, exec, s[4:5]
	s_cbranch_vccnz .LBB0_399
; %bb.398:                              ;   in Loop: Header=BB0_82 Depth=1
	s_add_u32 s8, s36, 0x1000
	s_addc_u32 s9, s37, 0
	s_getpc_b64 s[16:17]
	s_add_u32 s16, s16, _Z41ncclDevFunc_AllGather_PAT_LL_Sum_i8_0_0_1v@rel32@lo+4
	s_addc_u32 s17, s17, _Z41ncclDevFunc_AllGather_PAT_LL_Sum_i8_0_0_1v@rel32@hi+12
	s_mov_b64 s[4:5], s[48:49]
	s_mov_b64 s[6:7], s[38:39]
	;; [unrolled: 1-line block ×3, first 2 shown]
	s_mov_b32 s12, s55
	s_mov_b32 s13, s54
	;; [unrolled: 1-line block ×3, first 2 shown]
	v_mov_b32_e32 v31, v40
	s_swappc_b64 s[30:31], s[16:17]
.LBB0_399:                              ;   in Loop: Header=BB0_82 Depth=1
	s_mov_b64 s[4:5], 0
.LBB0_400:                              ;   in Loop: Header=BB0_82 Depth=1
	s_andn2_b64 vcc, exec, s[4:5]
	s_cbranch_vccnz .LBB0_412
; %bb.401:                              ;   in Loop: Header=BB0_82 Depth=1
	s_cmp_gt_u32 s71, 45
	s_mov_b64 s[4:5], -1
	s_cbranch_scc0 .LBB0_407
; %bb.402:                              ;   in Loop: Header=BB0_82 Depth=1
	s_cmp_lg_u32 s71, 46
	s_cbranch_scc0 .LBB0_404
; %bb.403:                              ;   in Loop: Header=BB0_82 Depth=1
	s_add_u32 s8, s36, 0x1000
	s_addc_u32 s9, s37, 0
	s_getpc_b64 s[16:17]
	s_add_u32 s16, s16, _Z46ncclDevFunc_AllGather_RING_SIMPLE_Sum_i8_0_0_1v@rel32@lo+4
	s_addc_u32 s17, s17, _Z46ncclDevFunc_AllGather_RING_SIMPLE_Sum_i8_0_0_1v@rel32@hi+12
	s_mov_b64 s[4:5], s[48:49]
	s_mov_b64 s[6:7], s[38:39]
	;; [unrolled: 1-line block ×3, first 2 shown]
	s_mov_b32 s12, s55
	s_mov_b32 s13, s54
	;; [unrolled: 1-line block ×3, first 2 shown]
	v_mov_b32_e32 v31, v40
	s_swappc_b64 s[30:31], s[16:17]
	s_mov_b64 s[4:5], 0
.LBB0_404:                              ;   in Loop: Header=BB0_82 Depth=1
	s_andn2_b64 vcc, exec, s[4:5]
	s_cbranch_vccnz .LBB0_406
; %bb.405:                              ;   in Loop: Header=BB0_82 Depth=1
	s_add_u32 s8, s36, 0x1000
	s_addc_u32 s9, s37, 0
	s_getpc_b64 s[16:17]
	s_add_u32 s16, s16, _Z42ncclDevFunc_AllGather_RING_LL_Sum_i8_0_0_1v@rel32@lo+4
	s_addc_u32 s17, s17, _Z42ncclDevFunc_AllGather_RING_LL_Sum_i8_0_0_1v@rel32@hi+12
	s_mov_b64 s[4:5], s[48:49]
	s_mov_b64 s[6:7], s[38:39]
	;; [unrolled: 1-line block ×3, first 2 shown]
	s_mov_b32 s12, s55
	s_mov_b32 s13, s54
	;; [unrolled: 1-line block ×3, first 2 shown]
	v_mov_b32_e32 v31, v40
	s_swappc_b64 s[30:31], s[16:17]
.LBB0_406:                              ;   in Loop: Header=BB0_82 Depth=1
	s_mov_b64 s[4:5], 0
.LBB0_407:                              ;   in Loop: Header=BB0_82 Depth=1
	s_andn2_b64 vcc, exec, s[4:5]
	s_cbranch_vccnz .LBB0_412
; %bb.408:                              ;   in Loop: Header=BB0_82 Depth=1
	s_cmp_eq_u32 s71, 45
	s_mov_b64 s[4:5], -1
	s_cbranch_scc1 .LBB0_410
; %bb.409:                              ;   in Loop: Header=BB0_82 Depth=1
	s_add_u32 s8, s36, 0x1000
	s_addc_u32 s9, s37, 0
	s_getpc_b64 s[16:17]
	s_add_u32 s16, s16, _Z51ncclDevFunc_Reduce_RING_SIMPLE_SumPostDiv_u32_0_0_1v@rel32@lo+4
	s_addc_u32 s17, s17, _Z51ncclDevFunc_Reduce_RING_SIMPLE_SumPostDiv_u32_0_0_1v@rel32@hi+12
	s_mov_b64 s[4:5], s[48:49]
	s_mov_b64 s[6:7], s[38:39]
	;; [unrolled: 1-line block ×3, first 2 shown]
	s_mov_b32 s12, s55
	s_mov_b32 s13, s54
	s_mov_b32 s14, s33
	v_mov_b32_e32 v31, v40
	s_swappc_b64 s[30:31], s[16:17]
	s_mov_b64 s[4:5], 0
.LBB0_410:                              ;   in Loop: Header=BB0_82 Depth=1
	s_andn2_b64 vcc, exec, s[4:5]
	s_cbranch_vccnz .LBB0_412
; %bb.411:                              ;   in Loop: Header=BB0_82 Depth=1
	s_add_u32 s8, s36, 0x1000
	s_addc_u32 s9, s37, 0
	s_getpc_b64 s[16:17]
	s_add_u32 s16, s16, _Z51ncclDevFunc_Reduce_RING_SIMPLE_SumPostDiv_u64_0_0_1v@rel32@lo+4
	s_addc_u32 s17, s17, _Z51ncclDevFunc_Reduce_RING_SIMPLE_SumPostDiv_u64_0_0_1v@rel32@hi+12
	s_mov_b64 s[4:5], s[48:49]
	s_mov_b64 s[6:7], s[38:39]
	;; [unrolled: 1-line block ×3, first 2 shown]
	s_mov_b32 s12, s55
	s_mov_b32 s13, s54
	;; [unrolled: 1-line block ×3, first 2 shown]
	v_mov_b32_e32 v31, v40
	s_swappc_b64 s[30:31], s[16:17]
.LBB0_412:                              ;   in Loop: Header=BB0_82 Depth=1
	s_mov_b64 s[4:5], 0
.LBB0_413:                              ;   in Loop: Header=BB0_82 Depth=1
	s_andn2_b64 vcc, exec, s[4:5]
	s_cbranch_vccnz .LBB0_568
; %bb.414:                              ;   in Loop: Header=BB0_82 Depth=1
	s_cmp_gt_u32 s71, 21
	s_mov_b64 s[4:5], -1
	s_cbranch_scc0 .LBB0_493
; %bb.415:                              ;   in Loop: Header=BB0_82 Depth=1
	s_cmp_gt_u32 s71, 32
	s_cbranch_scc0 .LBB0_454
; %bb.416:                              ;   in Loop: Header=BB0_82 Depth=1
	s_cmp_gt_u32 s71, 37
	;; [unrolled: 3-line block ×3, first 2 shown]
	s_cbranch_scc0 .LBB0_427
; %bb.418:                              ;   in Loop: Header=BB0_82 Depth=1
	s_sext_i32_i16 s4, s70
	s_cmp_lt_i32 s4, 42
	s_mov_b64 s[4:5], -1
	s_cbranch_scc1 .LBB0_424
; %bb.419:                              ;   in Loop: Header=BB0_82 Depth=1
	s_cmp_lg_u32 s71, 42
	s_cbranch_scc0 .LBB0_421
; %bb.420:                              ;   in Loop: Header=BB0_82 Depth=1
	s_add_u32 s8, s36, 0x1000
	s_addc_u32 s9, s37, 0
	s_getpc_b64 s[16:17]
	s_add_u32 s16, s16, _Z50ncclDevFunc_Reduce_RING_SIMPLE_SumPostDiv_u8_0_0_1v@rel32@lo+4
	s_addc_u32 s17, s17, _Z50ncclDevFunc_Reduce_RING_SIMPLE_SumPostDiv_u8_0_0_1v@rel32@hi+12
	s_mov_b64 s[4:5], s[48:49]
	s_mov_b64 s[6:7], s[38:39]
	;; [unrolled: 1-line block ×3, first 2 shown]
	s_mov_b32 s12, s55
	s_mov_b32 s13, s54
	;; [unrolled: 1-line block ×3, first 2 shown]
	v_mov_b32_e32 v31, v40
	s_swappc_b64 s[30:31], s[16:17]
	s_mov_b64 s[4:5], 0
.LBB0_421:                              ;   in Loop: Header=BB0_82 Depth=1
	s_andn2_b64 vcc, exec, s[4:5]
	s_cbranch_vccnz .LBB0_423
; %bb.422:                              ;   in Loop: Header=BB0_82 Depth=1
	s_add_u32 s8, s36, 0x1000
	s_addc_u32 s9, s37, 0
	s_getpc_b64 s[16:17]
	s_add_u32 s16, s16, _Z53ncclDevFunc_Reduce_RING_SIMPLE_PreMulSum_f8e5m2_0_0_1v@rel32@lo+4
	s_addc_u32 s17, s17, _Z53ncclDevFunc_Reduce_RING_SIMPLE_PreMulSum_f8e5m2_0_0_1v@rel32@hi+12
	s_mov_b64 s[4:5], s[48:49]
	s_mov_b64 s[6:7], s[38:39]
	;; [unrolled: 1-line block ×3, first 2 shown]
	s_mov_b32 s12, s55
	s_mov_b32 s13, s54
	;; [unrolled: 1-line block ×3, first 2 shown]
	v_mov_b32_e32 v31, v40
	s_swappc_b64 s[30:31], s[16:17]
.LBB0_423:                              ;   in Loop: Header=BB0_82 Depth=1
	s_mov_b64 s[4:5], 0
.LBB0_424:                              ;   in Loop: Header=BB0_82 Depth=1
	s_andn2_b64 vcc, exec, s[4:5]
	s_cbranch_vccnz .LBB0_426
; %bb.425:                              ;   in Loop: Header=BB0_82 Depth=1
	s_add_u32 s8, s36, 0x1000
	s_addc_u32 s9, s37, 0
	s_getpc_b64 s[16:17]
	s_add_u32 s16, s16, _Z53ncclDevFunc_Reduce_RING_SIMPLE_PreMulSum_f8e4m3_0_0_1v@rel32@lo+4
	s_addc_u32 s17, s17, _Z53ncclDevFunc_Reduce_RING_SIMPLE_PreMulSum_f8e4m3_0_0_1v@rel32@hi+12
	s_mov_b64 s[4:5], s[48:49]
	s_mov_b64 s[6:7], s[38:39]
	;; [unrolled: 1-line block ×3, first 2 shown]
	s_mov_b32 s12, s55
	s_mov_b32 s13, s54
	;; [unrolled: 1-line block ×3, first 2 shown]
	v_mov_b32_e32 v31, v40
	s_swappc_b64 s[30:31], s[16:17]
.LBB0_426:                              ;   in Loop: Header=BB0_82 Depth=1
	s_mov_b64 s[4:5], 0
.LBB0_427:                              ;   in Loop: Header=BB0_82 Depth=1
	s_and_b64 vcc, exec, s[4:5]
	s_cbranch_vccz .LBB0_436
; %bb.428:                              ;   in Loop: Header=BB0_82 Depth=1
	s_sext_i32_i16 s4, s70
	s_cmp_lt_i32 s4, 39
	s_mov_b64 s[4:5], -1
	s_cbranch_scc1 .LBB0_434
; %bb.429:                              ;   in Loop: Header=BB0_82 Depth=1
	s_cmp_lg_u32 s71, 39
	s_cbranch_scc0 .LBB0_431
; %bb.430:                              ;   in Loop: Header=BB0_82 Depth=1
	s_add_u32 s8, s36, 0x1000
	s_addc_u32 s9, s37, 0
	s_getpc_b64 s[16:17]
	s_add_u32 s16, s16, _Z51ncclDevFunc_Reduce_RING_SIMPLE_PreMulSum_bf16_0_1_1v@rel32@lo+4
	s_addc_u32 s17, s17, _Z51ncclDevFunc_Reduce_RING_SIMPLE_PreMulSum_bf16_0_1_1v@rel32@hi+12
	s_mov_b64 s[4:5], s[48:49]
	s_mov_b64 s[6:7], s[38:39]
	;; [unrolled: 1-line block ×3, first 2 shown]
	s_mov_b32 s12, s55
	s_mov_b32 s13, s54
	;; [unrolled: 1-line block ×3, first 2 shown]
	v_mov_b32_e32 v31, v40
	s_swappc_b64 s[30:31], s[16:17]
	s_mov_b64 s[4:5], 0
.LBB0_431:                              ;   in Loop: Header=BB0_82 Depth=1
	s_andn2_b64 vcc, exec, s[4:5]
	s_cbranch_vccnz .LBB0_433
; %bb.432:                              ;   in Loop: Header=BB0_82 Depth=1
	s_add_u32 s8, s36, 0x1000
	s_addc_u32 s9, s37, 0
	s_getpc_b64 s[16:17]
	s_add_u32 s16, s16, _Z51ncclDevFunc_Reduce_RING_SIMPLE_PreMulSum_bf16_0_0_1v@rel32@lo+4
	s_addc_u32 s17, s17, _Z51ncclDevFunc_Reduce_RING_SIMPLE_PreMulSum_bf16_0_0_1v@rel32@hi+12
	s_mov_b64 s[4:5], s[48:49]
	s_mov_b64 s[6:7], s[38:39]
	;; [unrolled: 1-line block ×3, first 2 shown]
	s_mov_b32 s12, s55
	s_mov_b32 s13, s54
	;; [unrolled: 1-line block ×3, first 2 shown]
	v_mov_b32_e32 v31, v40
	s_swappc_b64 s[30:31], s[16:17]
.LBB0_433:                              ;   in Loop: Header=BB0_82 Depth=1
	s_mov_b64 s[4:5], 0
.LBB0_434:                              ;   in Loop: Header=BB0_82 Depth=1
	s_andn2_b64 vcc, exec, s[4:5]
	s_cbranch_vccnz .LBB0_436
; %bb.435:                              ;   in Loop: Header=BB0_82 Depth=1
	s_add_u32 s8, s36, 0x1000
	s_addc_u32 s9, s37, 0
	s_getpc_b64 s[16:17]
	s_add_u32 s16, s16, _Z50ncclDevFunc_Reduce_RING_SIMPLE_PreMulSum_f64_0_0_1v@rel32@lo+4
	s_addc_u32 s17, s17, _Z50ncclDevFunc_Reduce_RING_SIMPLE_PreMulSum_f64_0_0_1v@rel32@hi+12
	s_mov_b64 s[4:5], s[48:49]
	s_mov_b64 s[6:7], s[38:39]
	;; [unrolled: 1-line block ×3, first 2 shown]
	s_mov_b32 s12, s55
	s_mov_b32 s13, s54
	;; [unrolled: 1-line block ×3, first 2 shown]
	v_mov_b32_e32 v31, v40
	s_swappc_b64 s[30:31], s[16:17]
.LBB0_436:                              ;   in Loop: Header=BB0_82 Depth=1
	s_mov_b64 s[4:5], 0
.LBB0_437:                              ;   in Loop: Header=BB0_82 Depth=1
	s_andn2_b64 vcc, exec, s[4:5]
	s_cbranch_vccnz .LBB0_453
; %bb.438:                              ;   in Loop: Header=BB0_82 Depth=1
	s_cmp_gt_u32 s71, 34
	s_mov_b64 s[4:5], -1
	s_cbranch_scc0 .LBB0_448
; %bb.439:                              ;   in Loop: Header=BB0_82 Depth=1
	s_sext_i32_i16 s4, s70
	s_cmp_lt_i32 s4, 36
	s_mov_b64 s[4:5], -1
	s_cbranch_scc1 .LBB0_445
; %bb.440:                              ;   in Loop: Header=BB0_82 Depth=1
	s_cmp_lg_u32 s71, 36
	s_cbranch_scc0 .LBB0_442
; %bb.441:                              ;   in Loop: Header=BB0_82 Depth=1
	s_add_u32 s8, s36, 0x1000
	s_addc_u32 s9, s37, 0
	s_getpc_b64 s[16:17]
	s_add_u32 s16, s16, _Z50ncclDevFunc_Reduce_RING_SIMPLE_PreMulSum_f32_0_0_1v@rel32@lo+4
	s_addc_u32 s17, s17, _Z50ncclDevFunc_Reduce_RING_SIMPLE_PreMulSum_f32_0_0_1v@rel32@hi+12
	s_mov_b64 s[4:5], s[48:49]
	s_mov_b64 s[6:7], s[38:39]
	;; [unrolled: 1-line block ×3, first 2 shown]
	s_mov_b32 s12, s55
	s_mov_b32 s13, s54
	;; [unrolled: 1-line block ×3, first 2 shown]
	v_mov_b32_e32 v31, v40
	s_swappc_b64 s[30:31], s[16:17]
	s_mov_b64 s[4:5], 0
.LBB0_442:                              ;   in Loop: Header=BB0_82 Depth=1
	s_andn2_b64 vcc, exec, s[4:5]
	s_cbranch_vccnz .LBB0_444
; %bb.443:                              ;   in Loop: Header=BB0_82 Depth=1
	s_add_u32 s8, s36, 0x1000
	s_addc_u32 s9, s37, 0
	s_getpc_b64 s[16:17]
	s_add_u32 s16, s16, _Z50ncclDevFunc_Reduce_RING_SIMPLE_PreMulSum_f16_0_0_1v@rel32@lo+4
	s_addc_u32 s17, s17, _Z50ncclDevFunc_Reduce_RING_SIMPLE_PreMulSum_f16_0_0_1v@rel32@hi+12
	s_mov_b64 s[4:5], s[48:49]
	s_mov_b64 s[6:7], s[38:39]
	;; [unrolled: 1-line block ×3, first 2 shown]
	s_mov_b32 s12, s55
	s_mov_b32 s13, s54
	s_mov_b32 s14, s33
	v_mov_b32_e32 v31, v40
	s_swappc_b64 s[30:31], s[16:17]
.LBB0_444:                              ;   in Loop: Header=BB0_82 Depth=1
	s_mov_b64 s[4:5], 0
.LBB0_445:                              ;   in Loop: Header=BB0_82 Depth=1
	s_andn2_b64 vcc, exec, s[4:5]
	s_cbranch_vccnz .LBB0_447
; %bb.446:                              ;   in Loop: Header=BB0_82 Depth=1
	s_add_u32 s8, s36, 0x1000
	s_addc_u32 s9, s37, 0
	s_getpc_b64 s[16:17]
	s_add_u32 s16, s16, _Z50ncclDevFunc_Reduce_RING_SIMPLE_PreMulSum_u64_0_0_1v@rel32@lo+4
	s_addc_u32 s17, s17, _Z50ncclDevFunc_Reduce_RING_SIMPLE_PreMulSum_u64_0_0_1v@rel32@hi+12
	s_mov_b64 s[4:5], s[48:49]
	s_mov_b64 s[6:7], s[38:39]
	;; [unrolled: 1-line block ×3, first 2 shown]
	s_mov_b32 s12, s55
	s_mov_b32 s13, s54
	;; [unrolled: 1-line block ×3, first 2 shown]
	v_mov_b32_e32 v31, v40
	s_swappc_b64 s[30:31], s[16:17]
.LBB0_447:                              ;   in Loop: Header=BB0_82 Depth=1
	s_mov_b64 s[4:5], 0
.LBB0_448:                              ;   in Loop: Header=BB0_82 Depth=1
	s_and_b64 vcc, exec, s[4:5]
	s_cbranch_vccz .LBB0_453
; %bb.449:                              ;   in Loop: Header=BB0_82 Depth=1
	s_cmp_eq_u32 s71, 34
	s_mov_b64 s[4:5], -1
	s_cbranch_scc1 .LBB0_451
; %bb.450:                              ;   in Loop: Header=BB0_82 Depth=1
	s_add_u32 s8, s36, 0x1000
	s_addc_u32 s9, s37, 0
	s_getpc_b64 s[16:17]
	s_add_u32 s16, s16, _Z49ncclDevFunc_Reduce_RING_SIMPLE_PreMulSum_u8_0_0_1v@rel32@lo+4
	s_addc_u32 s17, s17, _Z49ncclDevFunc_Reduce_RING_SIMPLE_PreMulSum_u8_0_0_1v@rel32@hi+12
	s_mov_b64 s[4:5], s[48:49]
	s_mov_b64 s[6:7], s[38:39]
	;; [unrolled: 1-line block ×3, first 2 shown]
	s_mov_b32 s12, s55
	s_mov_b32 s13, s54
	;; [unrolled: 1-line block ×3, first 2 shown]
	v_mov_b32_e32 v31, v40
	s_swappc_b64 s[30:31], s[16:17]
	s_mov_b64 s[4:5], 0
.LBB0_451:                              ;   in Loop: Header=BB0_82 Depth=1
	s_andn2_b64 vcc, exec, s[4:5]
	s_cbranch_vccnz .LBB0_453
; %bb.452:                              ;   in Loop: Header=BB0_82 Depth=1
	s_add_u32 s8, s36, 0x1000
	s_addc_u32 s9, s37, 0
	s_getpc_b64 s[16:17]
	s_add_u32 s16, s16, _Z50ncclDevFunc_Reduce_RING_SIMPLE_PreMulSum_u32_0_0_1v@rel32@lo+4
	s_addc_u32 s17, s17, _Z50ncclDevFunc_Reduce_RING_SIMPLE_PreMulSum_u32_0_0_1v@rel32@hi+12
	s_mov_b64 s[4:5], s[48:49]
	s_mov_b64 s[6:7], s[38:39]
	;; [unrolled: 1-line block ×3, first 2 shown]
	s_mov_b32 s12, s55
	s_mov_b32 s13, s54
	;; [unrolled: 1-line block ×3, first 2 shown]
	v_mov_b32_e32 v31, v40
	s_swappc_b64 s[30:31], s[16:17]
.LBB0_453:                              ;   in Loop: Header=BB0_82 Depth=1
	s_mov_b64 s[4:5], 0
.LBB0_454:                              ;   in Loop: Header=BB0_82 Depth=1
	s_andn2_b64 vcc, exec, s[4:5]
	s_cbranch_vccnz .LBB0_492
; %bb.455:                              ;   in Loop: Header=BB0_82 Depth=1
	s_cmp_gt_u32 s71, 26
	s_mov_b64 s[4:5], -1
	s_cbranch_scc0 .LBB0_476
; %bb.456:                              ;   in Loop: Header=BB0_82 Depth=1
	s_cmp_gt_u32 s71, 29
	s_cbranch_scc0 .LBB0_466
; %bb.457:                              ;   in Loop: Header=BB0_82 Depth=1
	s_sext_i32_i16 s4, s70
	s_cmp_lt_i32 s4, 31
	s_mov_b64 s[4:5], -1
	s_cbranch_scc1 .LBB0_463
; %bb.458:                              ;   in Loop: Header=BB0_82 Depth=1
	s_cmp_lg_u32 s71, 31
	s_cbranch_scc0 .LBB0_460
; %bb.459:                              ;   in Loop: Header=BB0_82 Depth=1
	s_add_u32 s8, s36, 0x1000
	s_addc_u32 s9, s37, 0
	s_getpc_b64 s[16:17]
	s_add_u32 s16, s16, _Z50ncclDevFunc_Reduce_RING_SIMPLE_MinMax_f8e5m2_0_0_1v@rel32@lo+4
	s_addc_u32 s17, s17, _Z50ncclDevFunc_Reduce_RING_SIMPLE_MinMax_f8e5m2_0_0_1v@rel32@hi+12
	s_mov_b64 s[4:5], s[48:49]
	s_mov_b64 s[6:7], s[38:39]
	;; [unrolled: 1-line block ×3, first 2 shown]
	s_mov_b32 s12, s55
	s_mov_b32 s13, s54
	;; [unrolled: 1-line block ×3, first 2 shown]
	v_mov_b32_e32 v31, v40
	s_swappc_b64 s[30:31], s[16:17]
	s_mov_b64 s[4:5], 0
.LBB0_460:                              ;   in Loop: Header=BB0_82 Depth=1
	s_andn2_b64 vcc, exec, s[4:5]
	s_cbranch_vccnz .LBB0_462
; %bb.461:                              ;   in Loop: Header=BB0_82 Depth=1
	s_add_u32 s8, s36, 0x1000
	s_addc_u32 s9, s37, 0
	s_getpc_b64 s[16:17]
	s_add_u32 s16, s16, _Z50ncclDevFunc_Reduce_RING_SIMPLE_MinMax_f8e4m3_0_0_1v@rel32@lo+4
	s_addc_u32 s17, s17, _Z50ncclDevFunc_Reduce_RING_SIMPLE_MinMax_f8e4m3_0_0_1v@rel32@hi+12
	s_mov_b64 s[4:5], s[48:49]
	s_mov_b64 s[6:7], s[38:39]
	;; [unrolled: 1-line block ×3, first 2 shown]
	s_mov_b32 s12, s55
	s_mov_b32 s13, s54
	;; [unrolled: 1-line block ×3, first 2 shown]
	v_mov_b32_e32 v31, v40
	s_swappc_b64 s[30:31], s[16:17]
.LBB0_462:                              ;   in Loop: Header=BB0_82 Depth=1
	s_mov_b64 s[4:5], 0
.LBB0_463:                              ;   in Loop: Header=BB0_82 Depth=1
	s_andn2_b64 vcc, exec, s[4:5]
	s_cbranch_vccnz .LBB0_465
; %bb.464:                              ;   in Loop: Header=BB0_82 Depth=1
	s_add_u32 s8, s36, 0x1000
	s_addc_u32 s9, s37, 0
	s_getpc_b64 s[16:17]
	s_add_u32 s16, s16, _Z48ncclDevFunc_Reduce_RING_SIMPLE_MinMax_bf16_0_1_1v@rel32@lo+4
	s_addc_u32 s17, s17, _Z48ncclDevFunc_Reduce_RING_SIMPLE_MinMax_bf16_0_1_1v@rel32@hi+12
	s_mov_b64 s[4:5], s[48:49]
	s_mov_b64 s[6:7], s[38:39]
	;; [unrolled: 1-line block ×3, first 2 shown]
	s_mov_b32 s12, s55
	s_mov_b32 s13, s54
	;; [unrolled: 1-line block ×3, first 2 shown]
	v_mov_b32_e32 v31, v40
	s_swappc_b64 s[30:31], s[16:17]
.LBB0_465:                              ;   in Loop: Header=BB0_82 Depth=1
	s_mov_b64 s[4:5], 0
.LBB0_466:                              ;   in Loop: Header=BB0_82 Depth=1
	s_and_b64 vcc, exec, s[4:5]
	s_cbranch_vccz .LBB0_475
; %bb.467:                              ;   in Loop: Header=BB0_82 Depth=1
	s_sext_i32_i16 s4, s70
	s_cmp_lt_i32 s4, 28
	s_mov_b64 s[4:5], -1
	s_cbranch_scc1 .LBB0_473
; %bb.468:                              ;   in Loop: Header=BB0_82 Depth=1
	s_cmp_lg_u32 s71, 28
	s_cbranch_scc0 .LBB0_470
; %bb.469:                              ;   in Loop: Header=BB0_82 Depth=1
	s_add_u32 s8, s36, 0x1000
	s_addc_u32 s9, s37, 0
	s_getpc_b64 s[16:17]
	s_add_u32 s16, s16, _Z48ncclDevFunc_Reduce_RING_SIMPLE_MinMax_bf16_0_0_1v@rel32@lo+4
	s_addc_u32 s17, s17, _Z48ncclDevFunc_Reduce_RING_SIMPLE_MinMax_bf16_0_0_1v@rel32@hi+12
	s_mov_b64 s[4:5], s[48:49]
	s_mov_b64 s[6:7], s[38:39]
	;; [unrolled: 1-line block ×3, first 2 shown]
	s_mov_b32 s12, s55
	s_mov_b32 s13, s54
	;; [unrolled: 1-line block ×3, first 2 shown]
	v_mov_b32_e32 v31, v40
	s_swappc_b64 s[30:31], s[16:17]
	s_mov_b64 s[4:5], 0
.LBB0_470:                              ;   in Loop: Header=BB0_82 Depth=1
	s_andn2_b64 vcc, exec, s[4:5]
	s_cbranch_vccnz .LBB0_472
; %bb.471:                              ;   in Loop: Header=BB0_82 Depth=1
	s_add_u32 s8, s36, 0x1000
	s_addc_u32 s9, s37, 0
	s_getpc_b64 s[16:17]
	s_add_u32 s16, s16, _Z47ncclDevFunc_Reduce_RING_SIMPLE_MinMax_f64_0_0_1v@rel32@lo+4
	s_addc_u32 s17, s17, _Z47ncclDevFunc_Reduce_RING_SIMPLE_MinMax_f64_0_0_1v@rel32@hi+12
	s_mov_b64 s[4:5], s[48:49]
	s_mov_b64 s[6:7], s[38:39]
	;; [unrolled: 1-line block ×3, first 2 shown]
	s_mov_b32 s12, s55
	s_mov_b32 s13, s54
	;; [unrolled: 1-line block ×3, first 2 shown]
	v_mov_b32_e32 v31, v40
	s_swappc_b64 s[30:31], s[16:17]
.LBB0_472:                              ;   in Loop: Header=BB0_82 Depth=1
	s_mov_b64 s[4:5], 0
.LBB0_473:                              ;   in Loop: Header=BB0_82 Depth=1
	s_andn2_b64 vcc, exec, s[4:5]
	s_cbranch_vccnz .LBB0_475
; %bb.474:                              ;   in Loop: Header=BB0_82 Depth=1
	s_add_u32 s8, s36, 0x1000
	s_addc_u32 s9, s37, 0
	s_getpc_b64 s[16:17]
	s_add_u32 s16, s16, _Z47ncclDevFunc_Reduce_RING_SIMPLE_MinMax_f32_0_0_1v@rel32@lo+4
	s_addc_u32 s17, s17, _Z47ncclDevFunc_Reduce_RING_SIMPLE_MinMax_f32_0_0_1v@rel32@hi+12
	s_mov_b64 s[4:5], s[48:49]
	s_mov_b64 s[6:7], s[38:39]
	;; [unrolled: 1-line block ×3, first 2 shown]
	s_mov_b32 s12, s55
	s_mov_b32 s13, s54
	;; [unrolled: 1-line block ×3, first 2 shown]
	v_mov_b32_e32 v31, v40
	s_swappc_b64 s[30:31], s[16:17]
.LBB0_475:                              ;   in Loop: Header=BB0_82 Depth=1
	s_mov_b64 s[4:5], 0
.LBB0_476:                              ;   in Loop: Header=BB0_82 Depth=1
	s_andn2_b64 vcc, exec, s[4:5]
	s_cbranch_vccnz .LBB0_492
; %bb.477:                              ;   in Loop: Header=BB0_82 Depth=1
	s_cmp_gt_u32 s71, 23
	s_mov_b64 s[4:5], -1
	s_cbranch_scc0 .LBB0_487
; %bb.478:                              ;   in Loop: Header=BB0_82 Depth=1
	s_sext_i32_i16 s4, s70
	s_cmp_lt_i32 s4, 25
	s_mov_b64 s[4:5], -1
	s_cbranch_scc1 .LBB0_484
; %bb.479:                              ;   in Loop: Header=BB0_82 Depth=1
	s_cmp_lg_u32 s71, 25
	s_cbranch_scc0 .LBB0_481
; %bb.480:                              ;   in Loop: Header=BB0_82 Depth=1
	s_add_u32 s8, s36, 0x1000
	s_addc_u32 s9, s37, 0
	s_getpc_b64 s[16:17]
	s_add_u32 s16, s16, _Z47ncclDevFunc_Reduce_RING_SIMPLE_MinMax_f16_0_0_1v@rel32@lo+4
	s_addc_u32 s17, s17, _Z47ncclDevFunc_Reduce_RING_SIMPLE_MinMax_f16_0_0_1v@rel32@hi+12
	s_mov_b64 s[4:5], s[48:49]
	s_mov_b64 s[6:7], s[38:39]
	;; [unrolled: 1-line block ×3, first 2 shown]
	s_mov_b32 s12, s55
	s_mov_b32 s13, s54
	;; [unrolled: 1-line block ×3, first 2 shown]
	v_mov_b32_e32 v31, v40
	s_swappc_b64 s[30:31], s[16:17]
	s_mov_b64 s[4:5], 0
.LBB0_481:                              ;   in Loop: Header=BB0_82 Depth=1
	s_andn2_b64 vcc, exec, s[4:5]
	s_cbranch_vccnz .LBB0_483
; %bb.482:                              ;   in Loop: Header=BB0_82 Depth=1
	s_add_u32 s8, s36, 0x1000
	s_addc_u32 s9, s37, 0
	s_getpc_b64 s[16:17]
	s_add_u32 s16, s16, _Z47ncclDevFunc_Reduce_RING_SIMPLE_MinMax_u64_0_0_1v@rel32@lo+4
	s_addc_u32 s17, s17, _Z47ncclDevFunc_Reduce_RING_SIMPLE_MinMax_u64_0_0_1v@rel32@hi+12
	s_mov_b64 s[4:5], s[48:49]
	s_mov_b64 s[6:7], s[38:39]
	;; [unrolled: 1-line block ×3, first 2 shown]
	s_mov_b32 s12, s55
	s_mov_b32 s13, s54
	s_mov_b32 s14, s33
	v_mov_b32_e32 v31, v40
	s_swappc_b64 s[30:31], s[16:17]
.LBB0_483:                              ;   in Loop: Header=BB0_82 Depth=1
	s_mov_b64 s[4:5], 0
.LBB0_484:                              ;   in Loop: Header=BB0_82 Depth=1
	s_andn2_b64 vcc, exec, s[4:5]
	s_cbranch_vccnz .LBB0_486
; %bb.485:                              ;   in Loop: Header=BB0_82 Depth=1
	s_add_u32 s8, s36, 0x1000
	s_addc_u32 s9, s37, 0
	s_getpc_b64 s[16:17]
	s_add_u32 s16, s16, _Z47ncclDevFunc_Reduce_RING_SIMPLE_MinMax_u32_0_0_1v@rel32@lo+4
	s_addc_u32 s17, s17, _Z47ncclDevFunc_Reduce_RING_SIMPLE_MinMax_u32_0_0_1v@rel32@hi+12
	s_mov_b64 s[4:5], s[48:49]
	s_mov_b64 s[6:7], s[38:39]
	;; [unrolled: 1-line block ×3, first 2 shown]
	s_mov_b32 s12, s55
	s_mov_b32 s13, s54
	s_mov_b32 s14, s33
	v_mov_b32_e32 v31, v40
	s_swappc_b64 s[30:31], s[16:17]
.LBB0_486:                              ;   in Loop: Header=BB0_82 Depth=1
	s_mov_b64 s[4:5], 0
.LBB0_487:                              ;   in Loop: Header=BB0_82 Depth=1
	s_and_b64 vcc, exec, s[4:5]
	s_cbranch_vccz .LBB0_492
; %bb.488:                              ;   in Loop: Header=BB0_82 Depth=1
	s_cmp_eq_u32 s71, 23
	s_mov_b64 s[4:5], -1
	s_cbranch_scc1 .LBB0_490
; %bb.489:                              ;   in Loop: Header=BB0_82 Depth=1
	s_add_u32 s8, s36, 0x1000
	s_addc_u32 s9, s37, 0
	s_getpc_b64 s[16:17]
	s_add_u32 s16, s16, _Z48ncclDevFunc_Reduce_RING_SIMPLE_Prod_f8e5m2_0_0_1v@rel32@lo+4
	s_addc_u32 s17, s17, _Z48ncclDevFunc_Reduce_RING_SIMPLE_Prod_f8e5m2_0_0_1v@rel32@hi+12
	s_mov_b64 s[4:5], s[48:49]
	s_mov_b64 s[6:7], s[38:39]
	;; [unrolled: 1-line block ×3, first 2 shown]
	s_mov_b32 s12, s55
	s_mov_b32 s13, s54
	;; [unrolled: 1-line block ×3, first 2 shown]
	v_mov_b32_e32 v31, v40
	s_swappc_b64 s[30:31], s[16:17]
	s_mov_b64 s[4:5], 0
.LBB0_490:                              ;   in Loop: Header=BB0_82 Depth=1
	s_andn2_b64 vcc, exec, s[4:5]
	s_cbranch_vccnz .LBB0_492
; %bb.491:                              ;   in Loop: Header=BB0_82 Depth=1
	s_add_u32 s8, s36, 0x1000
	s_addc_u32 s9, s37, 0
	s_getpc_b64 s[16:17]
	s_add_u32 s16, s16, _Z46ncclDevFunc_Reduce_RING_SIMPLE_MinMax_u8_0_0_1v@rel32@lo+4
	s_addc_u32 s17, s17, _Z46ncclDevFunc_Reduce_RING_SIMPLE_MinMax_u8_0_0_1v@rel32@hi+12
	s_mov_b64 s[4:5], s[48:49]
	s_mov_b64 s[6:7], s[38:39]
	;; [unrolled: 1-line block ×3, first 2 shown]
	s_mov_b32 s12, s55
	s_mov_b32 s13, s54
	;; [unrolled: 1-line block ×3, first 2 shown]
	v_mov_b32_e32 v31, v40
	s_swappc_b64 s[30:31], s[16:17]
.LBB0_492:                              ;   in Loop: Header=BB0_82 Depth=1
	s_mov_b64 s[4:5], 0
.LBB0_493:                              ;   in Loop: Header=BB0_82 Depth=1
	s_andn2_b64 vcc, exec, s[4:5]
	s_cbranch_vccnz .LBB0_568
; %bb.494:                              ;   in Loop: Header=BB0_82 Depth=1
	s_cmp_gt_u32 s71, 10
	s_mov_b64 s[4:5], -1
	s_cbranch_scc0 .LBB0_533
; %bb.495:                              ;   in Loop: Header=BB0_82 Depth=1
	s_cmp_gt_u32 s71, 15
	s_cbranch_scc0 .LBB0_516
; %bb.496:                              ;   in Loop: Header=BB0_82 Depth=1
	s_cmp_gt_u32 s71, 18
	s_cbranch_scc0 .LBB0_506
; %bb.497:                              ;   in Loop: Header=BB0_82 Depth=1
	s_sext_i32_i16 s4, s70
	s_cmp_lt_i32 s4, 20
	s_mov_b64 s[4:5], -1
	s_cbranch_scc1 .LBB0_503
; %bb.498:                              ;   in Loop: Header=BB0_82 Depth=1
	s_cmp_lg_u32 s71, 20
	s_cbranch_scc0 .LBB0_500
; %bb.499:                              ;   in Loop: Header=BB0_82 Depth=1
	s_add_u32 s8, s36, 0x1000
	s_addc_u32 s9, s37, 0
	s_getpc_b64 s[16:17]
	s_add_u32 s16, s16, _Z48ncclDevFunc_Reduce_RING_SIMPLE_Prod_f8e4m3_0_0_1v@rel32@lo+4
	s_addc_u32 s17, s17, _Z48ncclDevFunc_Reduce_RING_SIMPLE_Prod_f8e4m3_0_0_1v@rel32@hi+12
	s_mov_b64 s[4:5], s[48:49]
	s_mov_b64 s[6:7], s[38:39]
	;; [unrolled: 1-line block ×3, first 2 shown]
	s_mov_b32 s12, s55
	s_mov_b32 s13, s54
	;; [unrolled: 1-line block ×3, first 2 shown]
	v_mov_b32_e32 v31, v40
	s_swappc_b64 s[30:31], s[16:17]
	s_mov_b64 s[4:5], 0
.LBB0_500:                              ;   in Loop: Header=BB0_82 Depth=1
	s_andn2_b64 vcc, exec, s[4:5]
	s_cbranch_vccnz .LBB0_502
; %bb.501:                              ;   in Loop: Header=BB0_82 Depth=1
	s_add_u32 s8, s36, 0x1000
	s_addc_u32 s9, s37, 0
	s_getpc_b64 s[16:17]
	s_add_u32 s16, s16, _Z46ncclDevFunc_Reduce_RING_SIMPLE_Prod_bf16_0_1_1v@rel32@lo+4
	s_addc_u32 s17, s17, _Z46ncclDevFunc_Reduce_RING_SIMPLE_Prod_bf16_0_1_1v@rel32@hi+12
	s_mov_b64 s[4:5], s[48:49]
	s_mov_b64 s[6:7], s[38:39]
	;; [unrolled: 1-line block ×3, first 2 shown]
	s_mov_b32 s12, s55
	s_mov_b32 s13, s54
	;; [unrolled: 1-line block ×3, first 2 shown]
	v_mov_b32_e32 v31, v40
	s_swappc_b64 s[30:31], s[16:17]
.LBB0_502:                              ;   in Loop: Header=BB0_82 Depth=1
	s_mov_b64 s[4:5], 0
.LBB0_503:                              ;   in Loop: Header=BB0_82 Depth=1
	s_andn2_b64 vcc, exec, s[4:5]
	s_cbranch_vccnz .LBB0_505
; %bb.504:                              ;   in Loop: Header=BB0_82 Depth=1
	s_add_u32 s8, s36, 0x1000
	s_addc_u32 s9, s37, 0
	s_getpc_b64 s[16:17]
	s_add_u32 s16, s16, _Z46ncclDevFunc_Reduce_RING_SIMPLE_Prod_bf16_0_0_1v@rel32@lo+4
	s_addc_u32 s17, s17, _Z46ncclDevFunc_Reduce_RING_SIMPLE_Prod_bf16_0_0_1v@rel32@hi+12
	s_mov_b64 s[4:5], s[48:49]
	s_mov_b64 s[6:7], s[38:39]
	;; [unrolled: 1-line block ×3, first 2 shown]
	s_mov_b32 s12, s55
	s_mov_b32 s13, s54
	;; [unrolled: 1-line block ×3, first 2 shown]
	v_mov_b32_e32 v31, v40
	s_swappc_b64 s[30:31], s[16:17]
.LBB0_505:                              ;   in Loop: Header=BB0_82 Depth=1
	s_mov_b64 s[4:5], 0
.LBB0_506:                              ;   in Loop: Header=BB0_82 Depth=1
	s_and_b64 vcc, exec, s[4:5]
	s_cbranch_vccz .LBB0_515
; %bb.507:                              ;   in Loop: Header=BB0_82 Depth=1
	s_sext_i32_i16 s4, s70
	s_cmp_lt_i32 s4, 17
	s_mov_b64 s[4:5], -1
	s_cbranch_scc1 .LBB0_513
; %bb.508:                              ;   in Loop: Header=BB0_82 Depth=1
	s_cmp_lg_u32 s71, 17
	s_cbranch_scc0 .LBB0_510
; %bb.509:                              ;   in Loop: Header=BB0_82 Depth=1
	s_add_u32 s8, s36, 0x1000
	s_addc_u32 s9, s37, 0
	s_getpc_b64 s[16:17]
	s_add_u32 s16, s16, _Z45ncclDevFunc_Reduce_RING_SIMPLE_Prod_f64_0_0_1v@rel32@lo+4
	s_addc_u32 s17, s17, _Z45ncclDevFunc_Reduce_RING_SIMPLE_Prod_f64_0_0_1v@rel32@hi+12
	s_mov_b64 s[4:5], s[48:49]
	s_mov_b64 s[6:7], s[38:39]
	;; [unrolled: 1-line block ×3, first 2 shown]
	s_mov_b32 s12, s55
	s_mov_b32 s13, s54
	;; [unrolled: 1-line block ×3, first 2 shown]
	v_mov_b32_e32 v31, v40
	s_swappc_b64 s[30:31], s[16:17]
	s_mov_b64 s[4:5], 0
.LBB0_510:                              ;   in Loop: Header=BB0_82 Depth=1
	s_andn2_b64 vcc, exec, s[4:5]
	s_cbranch_vccnz .LBB0_512
; %bb.511:                              ;   in Loop: Header=BB0_82 Depth=1
	s_add_u32 s8, s36, 0x1000
	s_addc_u32 s9, s37, 0
	s_getpc_b64 s[16:17]
	s_add_u32 s16, s16, _Z45ncclDevFunc_Reduce_RING_SIMPLE_Prod_f32_0_0_1v@rel32@lo+4
	s_addc_u32 s17, s17, _Z45ncclDevFunc_Reduce_RING_SIMPLE_Prod_f32_0_0_1v@rel32@hi+12
	s_mov_b64 s[4:5], s[48:49]
	s_mov_b64 s[6:7], s[38:39]
	;; [unrolled: 1-line block ×3, first 2 shown]
	s_mov_b32 s12, s55
	s_mov_b32 s13, s54
	;; [unrolled: 1-line block ×3, first 2 shown]
	v_mov_b32_e32 v31, v40
	s_swappc_b64 s[30:31], s[16:17]
.LBB0_512:                              ;   in Loop: Header=BB0_82 Depth=1
	s_mov_b64 s[4:5], 0
.LBB0_513:                              ;   in Loop: Header=BB0_82 Depth=1
	s_andn2_b64 vcc, exec, s[4:5]
	s_cbranch_vccnz .LBB0_515
; %bb.514:                              ;   in Loop: Header=BB0_82 Depth=1
	s_add_u32 s8, s36, 0x1000
	s_addc_u32 s9, s37, 0
	s_getpc_b64 s[16:17]
	s_add_u32 s16, s16, _Z45ncclDevFunc_Reduce_RING_SIMPLE_Prod_f16_0_0_1v@rel32@lo+4
	s_addc_u32 s17, s17, _Z45ncclDevFunc_Reduce_RING_SIMPLE_Prod_f16_0_0_1v@rel32@hi+12
	s_mov_b64 s[4:5], s[48:49]
	s_mov_b64 s[6:7], s[38:39]
	;; [unrolled: 1-line block ×3, first 2 shown]
	s_mov_b32 s12, s55
	s_mov_b32 s13, s54
	s_mov_b32 s14, s33
	v_mov_b32_e32 v31, v40
	s_swappc_b64 s[30:31], s[16:17]
.LBB0_515:                              ;   in Loop: Header=BB0_82 Depth=1
	s_mov_b64 s[4:5], 0
.LBB0_516:                              ;   in Loop: Header=BB0_82 Depth=1
	s_andn2_b64 vcc, exec, s[4:5]
	s_cbranch_vccnz .LBB0_532
; %bb.517:                              ;   in Loop: Header=BB0_82 Depth=1
	s_cmp_gt_u32 s71, 12
	s_mov_b64 s[4:5], -1
	s_cbranch_scc0 .LBB0_527
; %bb.518:                              ;   in Loop: Header=BB0_82 Depth=1
	s_sext_i32_i16 s4, s70
	s_cmp_lt_i32 s4, 14
	s_mov_b64 s[4:5], -1
	s_cbranch_scc1 .LBB0_524
; %bb.519:                              ;   in Loop: Header=BB0_82 Depth=1
	s_cmp_lg_u32 s71, 14
	s_cbranch_scc0 .LBB0_521
; %bb.520:                              ;   in Loop: Header=BB0_82 Depth=1
	s_add_u32 s8, s36, 0x1000
	s_addc_u32 s9, s37, 0
	s_getpc_b64 s[16:17]
	s_add_u32 s16, s16, _Z45ncclDevFunc_Reduce_RING_SIMPLE_Prod_u64_0_0_1v@rel32@lo+4
	s_addc_u32 s17, s17, _Z45ncclDevFunc_Reduce_RING_SIMPLE_Prod_u64_0_0_1v@rel32@hi+12
	s_mov_b64 s[4:5], s[48:49]
	s_mov_b64 s[6:7], s[38:39]
	;; [unrolled: 1-line block ×3, first 2 shown]
	s_mov_b32 s12, s55
	s_mov_b32 s13, s54
	;; [unrolled: 1-line block ×3, first 2 shown]
	v_mov_b32_e32 v31, v40
	s_swappc_b64 s[30:31], s[16:17]
	s_mov_b64 s[4:5], 0
.LBB0_521:                              ;   in Loop: Header=BB0_82 Depth=1
	s_andn2_b64 vcc, exec, s[4:5]
	s_cbranch_vccnz .LBB0_523
; %bb.522:                              ;   in Loop: Header=BB0_82 Depth=1
	s_add_u32 s8, s36, 0x1000
	s_addc_u32 s9, s37, 0
	s_getpc_b64 s[16:17]
	s_add_u32 s16, s16, _Z45ncclDevFunc_Reduce_RING_SIMPLE_Prod_u32_0_0_1v@rel32@lo+4
	s_addc_u32 s17, s17, _Z45ncclDevFunc_Reduce_RING_SIMPLE_Prod_u32_0_0_1v@rel32@hi+12
	s_mov_b64 s[4:5], s[48:49]
	s_mov_b64 s[6:7], s[38:39]
	s_mov_b64 s[10:11], s[34:35]
	s_mov_b32 s12, s55
	s_mov_b32 s13, s54
	;; [unrolled: 1-line block ×3, first 2 shown]
	v_mov_b32_e32 v31, v40
	s_swappc_b64 s[30:31], s[16:17]
.LBB0_523:                              ;   in Loop: Header=BB0_82 Depth=1
	s_mov_b64 s[4:5], 0
.LBB0_524:                              ;   in Loop: Header=BB0_82 Depth=1
	s_andn2_b64 vcc, exec, s[4:5]
	s_cbranch_vccnz .LBB0_526
; %bb.525:                              ;   in Loop: Header=BB0_82 Depth=1
	s_add_u32 s8, s36, 0x1000
	s_addc_u32 s9, s37, 0
	s_getpc_b64 s[16:17]
	s_add_u32 s16, s16, _Z44ncclDevFunc_Reduce_RING_SIMPLE_Prod_u8_0_0_1v@rel32@lo+4
	s_addc_u32 s17, s17, _Z44ncclDevFunc_Reduce_RING_SIMPLE_Prod_u8_0_0_1v@rel32@hi+12
	s_mov_b64 s[4:5], s[48:49]
	s_mov_b64 s[6:7], s[38:39]
	;; [unrolled: 1-line block ×3, first 2 shown]
	s_mov_b32 s12, s55
	s_mov_b32 s13, s54
	;; [unrolled: 1-line block ×3, first 2 shown]
	v_mov_b32_e32 v31, v40
	s_swappc_b64 s[30:31], s[16:17]
.LBB0_526:                              ;   in Loop: Header=BB0_82 Depth=1
	s_mov_b64 s[4:5], 0
.LBB0_527:                              ;   in Loop: Header=BB0_82 Depth=1
	s_and_b64 vcc, exec, s[4:5]
	s_cbranch_vccz .LBB0_532
; %bb.528:                              ;   in Loop: Header=BB0_82 Depth=1
	s_cmp_eq_u32 s71, 12
	s_mov_b64 s[4:5], -1
	s_cbranch_scc1 .LBB0_530
; %bb.529:                              ;   in Loop: Header=BB0_82 Depth=1
	s_add_u32 s8, s36, 0x1000
	s_addc_u32 s9, s37, 0
	s_getpc_b64 s[16:17]
	s_add_u32 s16, s16, _Z47ncclDevFunc_Reduce_RING_SIMPLE_Sum_f8e4m3_0_0_1v@rel32@lo+4
	s_addc_u32 s17, s17, _Z47ncclDevFunc_Reduce_RING_SIMPLE_Sum_f8e4m3_0_0_1v@rel32@hi+12
	s_mov_b64 s[4:5], s[48:49]
	s_mov_b64 s[6:7], s[38:39]
	;; [unrolled: 1-line block ×3, first 2 shown]
	s_mov_b32 s12, s55
	s_mov_b32 s13, s54
	;; [unrolled: 1-line block ×3, first 2 shown]
	v_mov_b32_e32 v31, v40
	s_swappc_b64 s[30:31], s[16:17]
	s_mov_b64 s[4:5], 0
.LBB0_530:                              ;   in Loop: Header=BB0_82 Depth=1
	s_andn2_b64 vcc, exec, s[4:5]
	s_cbranch_vccnz .LBB0_532
; %bb.531:                              ;   in Loop: Header=BB0_82 Depth=1
	s_add_u32 s8, s36, 0x1000
	s_addc_u32 s9, s37, 0
	s_getpc_b64 s[16:17]
	s_add_u32 s16, s16, _Z47ncclDevFunc_Reduce_RING_SIMPLE_Sum_f8e5m2_0_0_1v@rel32@lo+4
	s_addc_u32 s17, s17, _Z47ncclDevFunc_Reduce_RING_SIMPLE_Sum_f8e5m2_0_0_1v@rel32@hi+12
	s_mov_b64 s[4:5], s[48:49]
	s_mov_b64 s[6:7], s[38:39]
	;; [unrolled: 1-line block ×3, first 2 shown]
	s_mov_b32 s12, s55
	s_mov_b32 s13, s54
	;; [unrolled: 1-line block ×3, first 2 shown]
	v_mov_b32_e32 v31, v40
	s_swappc_b64 s[30:31], s[16:17]
.LBB0_532:                              ;   in Loop: Header=BB0_82 Depth=1
	s_mov_b64 s[4:5], 0
.LBB0_533:                              ;   in Loop: Header=BB0_82 Depth=1
	s_andn2_b64 vcc, exec, s[4:5]
	s_cbranch_vccnz .LBB0_568
; %bb.534:                              ;   in Loop: Header=BB0_82 Depth=1
	s_cmp_gt_u32 s71, 4
	s_mov_b64 s[4:5], -1
	s_cbranch_scc0 .LBB0_555
; %bb.535:                              ;   in Loop: Header=BB0_82 Depth=1
	s_cmp_gt_u32 s71, 7
	s_cbranch_scc0 .LBB0_545
; %bb.536:                              ;   in Loop: Header=BB0_82 Depth=1
	s_sext_i32_i16 s4, s70
	s_cmp_lt_i32 s4, 9
	s_mov_b64 s[4:5], -1
	s_cbranch_scc1 .LBB0_542
; %bb.537:                              ;   in Loop: Header=BB0_82 Depth=1
	s_cmp_lg_u32 s71, 9
	s_cbranch_scc0 .LBB0_539
; %bb.538:                              ;   in Loop: Header=BB0_82 Depth=1
	s_add_u32 s8, s36, 0x1000
	s_addc_u32 s9, s37, 0
	s_getpc_b64 s[16:17]
	s_add_u32 s16, s16, _Z45ncclDevFunc_Reduce_RING_SIMPLE_Sum_bf16_0_1_1v@rel32@lo+4
	s_addc_u32 s17, s17, _Z45ncclDevFunc_Reduce_RING_SIMPLE_Sum_bf16_0_1_1v@rel32@hi+12
	s_mov_b64 s[4:5], s[48:49]
	s_mov_b64 s[6:7], s[38:39]
	;; [unrolled: 1-line block ×3, first 2 shown]
	s_mov_b32 s12, s55
	s_mov_b32 s13, s54
	;; [unrolled: 1-line block ×3, first 2 shown]
	v_mov_b32_e32 v31, v40
	s_swappc_b64 s[30:31], s[16:17]
	s_mov_b64 s[4:5], 0
.LBB0_539:                              ;   in Loop: Header=BB0_82 Depth=1
	s_andn2_b64 vcc, exec, s[4:5]
	s_cbranch_vccnz .LBB0_541
; %bb.540:                              ;   in Loop: Header=BB0_82 Depth=1
	s_add_u32 s8, s36, 0x1000
	s_addc_u32 s9, s37, 0
	s_getpc_b64 s[16:17]
	s_add_u32 s16, s16, _Z45ncclDevFunc_Reduce_RING_SIMPLE_Sum_bf16_0_0_1v@rel32@lo+4
	s_addc_u32 s17, s17, _Z45ncclDevFunc_Reduce_RING_SIMPLE_Sum_bf16_0_0_1v@rel32@hi+12
	s_mov_b64 s[4:5], s[48:49]
	s_mov_b64 s[6:7], s[38:39]
	;; [unrolled: 1-line block ×3, first 2 shown]
	s_mov_b32 s12, s55
	s_mov_b32 s13, s54
	;; [unrolled: 1-line block ×3, first 2 shown]
	v_mov_b32_e32 v31, v40
	s_swappc_b64 s[30:31], s[16:17]
.LBB0_541:                              ;   in Loop: Header=BB0_82 Depth=1
	s_mov_b64 s[4:5], 0
.LBB0_542:                              ;   in Loop: Header=BB0_82 Depth=1
	s_andn2_b64 vcc, exec, s[4:5]
	s_cbranch_vccnz .LBB0_544
; %bb.543:                              ;   in Loop: Header=BB0_82 Depth=1
	s_add_u32 s8, s36, 0x1000
	s_addc_u32 s9, s37, 0
	s_getpc_b64 s[16:17]
	s_add_u32 s16, s16, _Z44ncclDevFunc_Reduce_RING_SIMPLE_Sum_f64_0_0_1v@rel32@lo+4
	s_addc_u32 s17, s17, _Z44ncclDevFunc_Reduce_RING_SIMPLE_Sum_f64_0_0_1v@rel32@hi+12
	s_mov_b64 s[4:5], s[48:49]
	s_mov_b64 s[6:7], s[38:39]
	;; [unrolled: 1-line block ×3, first 2 shown]
	s_mov_b32 s12, s55
	s_mov_b32 s13, s54
	;; [unrolled: 1-line block ×3, first 2 shown]
	v_mov_b32_e32 v31, v40
	s_swappc_b64 s[30:31], s[16:17]
.LBB0_544:                              ;   in Loop: Header=BB0_82 Depth=1
	s_mov_b64 s[4:5], 0
.LBB0_545:                              ;   in Loop: Header=BB0_82 Depth=1
	s_and_b64 vcc, exec, s[4:5]
	s_cbranch_vccz .LBB0_554
; %bb.546:                              ;   in Loop: Header=BB0_82 Depth=1
	s_sext_i32_i16 s4, s70
	s_cmp_lt_i32 s4, 6
	s_mov_b64 s[4:5], -1
	s_cbranch_scc1 .LBB0_552
; %bb.547:                              ;   in Loop: Header=BB0_82 Depth=1
	s_cmp_lg_u32 s71, 6
	s_cbranch_scc0 .LBB0_549
; %bb.548:                              ;   in Loop: Header=BB0_82 Depth=1
	s_add_u32 s8, s36, 0x1000
	s_addc_u32 s9, s37, 0
	s_getpc_b64 s[16:17]
	s_add_u32 s16, s16, _Z44ncclDevFunc_Reduce_RING_SIMPLE_Sum_f32_0_0_1v@rel32@lo+4
	s_addc_u32 s17, s17, _Z44ncclDevFunc_Reduce_RING_SIMPLE_Sum_f32_0_0_1v@rel32@hi+12
	s_mov_b64 s[4:5], s[48:49]
	s_mov_b64 s[6:7], s[38:39]
	;; [unrolled: 1-line block ×3, first 2 shown]
	s_mov_b32 s12, s55
	s_mov_b32 s13, s54
	;; [unrolled: 1-line block ×3, first 2 shown]
	v_mov_b32_e32 v31, v40
	s_swappc_b64 s[30:31], s[16:17]
	s_mov_b64 s[4:5], 0
.LBB0_549:                              ;   in Loop: Header=BB0_82 Depth=1
	s_andn2_b64 vcc, exec, s[4:5]
	s_cbranch_vccnz .LBB0_551
; %bb.550:                              ;   in Loop: Header=BB0_82 Depth=1
	s_add_u32 s8, s36, 0x1000
	s_addc_u32 s9, s37, 0
	s_getpc_b64 s[16:17]
	s_add_u32 s16, s16, _Z44ncclDevFunc_Reduce_RING_SIMPLE_Sum_f16_0_0_1v@rel32@lo+4
	s_addc_u32 s17, s17, _Z44ncclDevFunc_Reduce_RING_SIMPLE_Sum_f16_0_0_1v@rel32@hi+12
	s_mov_b64 s[4:5], s[48:49]
	s_mov_b64 s[6:7], s[38:39]
	;; [unrolled: 1-line block ×3, first 2 shown]
	s_mov_b32 s12, s55
	s_mov_b32 s13, s54
	;; [unrolled: 1-line block ×3, first 2 shown]
	v_mov_b32_e32 v31, v40
	s_swappc_b64 s[30:31], s[16:17]
.LBB0_551:                              ;   in Loop: Header=BB0_82 Depth=1
	s_mov_b64 s[4:5], 0
.LBB0_552:                              ;   in Loop: Header=BB0_82 Depth=1
	s_andn2_b64 vcc, exec, s[4:5]
	s_cbranch_vccnz .LBB0_554
; %bb.553:                              ;   in Loop: Header=BB0_82 Depth=1
	s_add_u32 s8, s36, 0x1000
	s_addc_u32 s9, s37, 0
	s_getpc_b64 s[16:17]
	s_add_u32 s16, s16, _Z44ncclDevFunc_Reduce_RING_SIMPLE_Sum_u64_0_0_1v@rel32@lo+4
	s_addc_u32 s17, s17, _Z44ncclDevFunc_Reduce_RING_SIMPLE_Sum_u64_0_0_1v@rel32@hi+12
	s_mov_b64 s[4:5], s[48:49]
	s_mov_b64 s[6:7], s[38:39]
	;; [unrolled: 1-line block ×3, first 2 shown]
	s_mov_b32 s12, s55
	s_mov_b32 s13, s54
	;; [unrolled: 1-line block ×3, first 2 shown]
	v_mov_b32_e32 v31, v40
	s_swappc_b64 s[30:31], s[16:17]
.LBB0_554:                              ;   in Loop: Header=BB0_82 Depth=1
	s_mov_b64 s[4:5], 0
.LBB0_555:                              ;   in Loop: Header=BB0_82 Depth=1
	s_andn2_b64 vcc, exec, s[4:5]
	s_cbranch_vccnz .LBB0_568
; %bb.556:                              ;   in Loop: Header=BB0_82 Depth=1
	s_cmp_gt_u32 s71, 1
	s_mov_b64 s[4:5], -1
	s_cbranch_scc0 .LBB0_566
; %bb.557:                              ;   in Loop: Header=BB0_82 Depth=1
	s_sext_i32_i16 s4, s70
	s_cmp_lt_i32 s4, 3
	s_mov_b64 s[4:5], -1
	s_cbranch_scc1 .LBB0_563
; %bb.558:                              ;   in Loop: Header=BB0_82 Depth=1
	s_cmp_lg_u32 s71, 3
	s_cbranch_scc0 .LBB0_560
; %bb.559:                              ;   in Loop: Header=BB0_82 Depth=1
	s_add_u32 s8, s36, 0x1000
	s_addc_u32 s9, s37, 0
	s_getpc_b64 s[16:17]
	s_add_u32 s16, s16, _Z44ncclDevFunc_Reduce_RING_SIMPLE_Sum_u32_0_0_1v@rel32@lo+4
	s_addc_u32 s17, s17, _Z44ncclDevFunc_Reduce_RING_SIMPLE_Sum_u32_0_0_1v@rel32@hi+12
	s_mov_b64 s[4:5], s[48:49]
	s_mov_b64 s[6:7], s[38:39]
	;; [unrolled: 1-line block ×3, first 2 shown]
	s_mov_b32 s12, s55
	s_mov_b32 s13, s54
	;; [unrolled: 1-line block ×3, first 2 shown]
	v_mov_b32_e32 v31, v40
	s_swappc_b64 s[30:31], s[16:17]
	s_mov_b64 s[4:5], 0
.LBB0_560:                              ;   in Loop: Header=BB0_82 Depth=1
	s_andn2_b64 vcc, exec, s[4:5]
	s_cbranch_vccnz .LBB0_562
; %bb.561:                              ;   in Loop: Header=BB0_82 Depth=1
	s_add_u32 s8, s36, 0x1000
	s_addc_u32 s9, s37, 0
	s_getpc_b64 s[16:17]
	s_add_u32 s16, s16, _Z43ncclDevFunc_Reduce_RING_SIMPLE_Sum_u8_0_0_1v@rel32@lo+4
	s_addc_u32 s17, s17, _Z43ncclDevFunc_Reduce_RING_SIMPLE_Sum_u8_0_0_1v@rel32@hi+12
	s_mov_b64 s[4:5], s[48:49]
	s_mov_b64 s[6:7], s[38:39]
	;; [unrolled: 1-line block ×3, first 2 shown]
	s_mov_b32 s12, s55
	s_mov_b32 s13, s54
	;; [unrolled: 1-line block ×3, first 2 shown]
	v_mov_b32_e32 v31, v40
	s_swappc_b64 s[30:31], s[16:17]
.LBB0_562:                              ;   in Loop: Header=BB0_82 Depth=1
	s_mov_b64 s[4:5], 0
.LBB0_563:                              ;   in Loop: Header=BB0_82 Depth=1
	s_andn2_b64 vcc, exec, s[4:5]
	s_cbranch_vccnz .LBB0_565
; %bb.564:                              ;   in Loop: Header=BB0_82 Depth=1
	s_add_u32 s8, s36, 0x1000
	s_addc_u32 s9, s37, 0
	s_getpc_b64 s[16:17]
	s_add_u32 s16, s16, _Z46ncclDevFunc_Broadcast_RING_SIMPLE_Sum_i8_0_0_1v@rel32@lo+4
	s_addc_u32 s17, s17, _Z46ncclDevFunc_Broadcast_RING_SIMPLE_Sum_i8_0_0_1v@rel32@hi+12
	s_mov_b64 s[4:5], s[48:49]
	s_mov_b64 s[6:7], s[38:39]
	;; [unrolled: 1-line block ×3, first 2 shown]
	s_mov_b32 s12, s55
	s_mov_b32 s13, s54
	;; [unrolled: 1-line block ×3, first 2 shown]
	v_mov_b32_e32 v31, v40
	s_swappc_b64 s[30:31], s[16:17]
.LBB0_565:                              ;   in Loop: Header=BB0_82 Depth=1
	s_mov_b64 s[4:5], 0
.LBB0_566:                              ;   in Loop: Header=BB0_82 Depth=1
	s_and_b64 vcc, exec, s[4:5]
	s_cbranch_vccz .LBB0_568
; %bb.567:                              ;   in Loop: Header=BB0_82 Depth=1
	s_add_u32 s8, s36, 0x1000
	s_addc_u32 s9, s37, 0
	s_getpc_b64 s[16:17]
	s_add_u32 s16, s16, _Z42ncclDevFunc_Broadcast_RING_LL_Sum_i8_0_0_1v@rel32@lo+4
	s_addc_u32 s17, s17, _Z42ncclDevFunc_Broadcast_RING_LL_Sum_i8_0_0_1v@rel32@hi+12
	s_mov_b64 s[4:5], s[48:49]
	s_mov_b64 s[6:7], s[38:39]
	;; [unrolled: 1-line block ×3, first 2 shown]
	s_mov_b32 s12, s55
	s_mov_b32 s13, s54
	;; [unrolled: 1-line block ×3, first 2 shown]
	v_mov_b32_e32 v31, v40
	s_swappc_b64 s[30:31], s[16:17]
.LBB0_568:                              ;   in Loop: Header=BB0_82 Depth=1
	ds_read_b32 v0, v41 offset:16996
	s_waitcnt lgkmcnt(0)
	v_cmp_eq_u32_e32 vcc, -1, v0
	v_readfirstlane_b32 s12, v0
	s_cbranch_vccnz .LBB0_583
; %bb.569:                              ;   in Loop: Header=BB0_82 Depth=1
	s_waitcnt vmcnt(0)
	s_barrier
	s_and_saveexec_b64 s[4:5], s[64:65]
	s_cbranch_execz .LBB0_573
; %bb.570:                              ;   in Loop: Header=BB0_82 Depth=1
	s_and_saveexec_b64 s[6:7], s[52:53]
; %bb.571:                              ;   in Loop: Header=BB0_82 Depth=1
	v_mov_b32_e32 v42, v41
	ds_write_b64 v41, v[41:42] offset:19736
; %bb.572:                              ;   in Loop: Header=BB0_82 Depth=1
	s_or_b64 exec, exec, s[6:7]
	v_mov_b32_e32 v42, v41
	ds_write_b64 v45, v[41:42]
.LBB0_573:                              ;   in Loop: Header=BB0_82 Depth=1
	s_or_b64 exec, exec, s[4:5]
	s_and_saveexec_b64 s[4:5], s[50:51]
	s_cbranch_execz .LBB0_585
; %bb.574:                              ;   in Loop: Header=BB0_82 Depth=1
	ds_read_b64 v[2:3], v41 offset:16976
	ds_read_b32 v6, v41 offset:17004
	s_waitcnt lgkmcnt(1)
	v_add_co_u32_e32 v0, vcc, 1, v2
	v_addc_co_u32_e32 v1, vcc, 0, v3, vcc
	s_waitcnt lgkmcnt(0)
	v_ashrrev_i32_e32 v5, 31, v6
	v_add_co_u32_e32 v4, vcc, v2, v6
	v_addc_co_u32_e32 v5, vcc, v3, v5, vcc
	v_cmp_gt_u64_e32 vcc, v[0:1], v[4:5]
	s_cbranch_vccnz .LBB0_584
; %bb.575:                              ;   in Loop: Header=BB0_82 Depth=1
	ds_read_u8 v7, v41 offset:17000
	s_movk_i32 s8, 0x494e
	s_movk_i32 s9, 0x491a
	s_branch .LBB0_577
.LBB0_576:                              ;   in Loop: Header=BB0_577 Depth=2
	v_add_co_u32_e32 v0, vcc, 1, v0
	v_addc_co_u32_e32 v1, vcc, 0, v1, vcc
	s_waitcnt lgkmcnt(0)
	v_ashrrev_i32_e32 v5, 31, v6
	v_add_co_u32_e32 v4, vcc, v2, v6
	v_addc_co_u32_e32 v5, vcc, v3, v5, vcc
	v_cmp_le_u64_e32 vcc, v[0:1], v[4:5]
	s_add_i32 s8, s8, 64
	s_addk_i32 s9, 0x80
	s_cbranch_vccz .LBB0_584
.LBB0_577:                              ;   Parent Loop BB0_82 Depth=1
                                        ; =>  This Inner Loop Header: Depth=2
	s_waitcnt lgkmcnt(0)
	v_cmp_ne_u32_sdwa s[6:7], v7, v41 src0_sel:BYTE_0 src1_sel:DWORD
	s_and_b64 vcc, exec, s[6:7]
	s_cbranch_vccz .LBB0_582
; %bb.578:                              ;   in Loop: Header=BB0_577 Depth=2
	v_mov_b32_e32 v4, s9
	ds_read_u8 v4, v4
	s_waitcnt lgkmcnt(0)
	v_and_b32_e32 v4, 1, v4
	s_cbranch_execnz .LBB0_580
.LBB0_579:                              ;   in Loop: Header=BB0_577 Depth=2
	v_mov_b32_e32 v4, s8
	ds_read_u16 v4, v4
	s_waitcnt lgkmcnt(0)
	v_bfe_u32 v4, v4, 6, 1
.LBB0_580:                              ;   in Loop: Header=BB0_577 Depth=2
	v_cmp_eq_u32_e32 vcc, 0, v4
	s_cbranch_vccnz .LBB0_576
; %bb.581:                              ;   in Loop: Header=BB0_577 Depth=2
	s_memrealtime s[6:7]
	ds_read_u8 v7, v41 offset:17000
	ds_read_b32 v2, v41 offset:16496
	ds_read_b64 v[4:5], v41 offset:16600
	s_waitcnt lgkmcnt(0)
	v_ashrrev_i32_e32 v3, 31, v2
	v_lshlrev_b64 v[2:3], 10, v[2:3]
	v_add_co_u32_e32 v2, vcc, v4, v2
	v_and_b32_e32 v4, 63, v0
	v_addc_co_u32_e32 v3, vcc, v5, v3, vcc
	v_lshlrev_b32_e32 v4, 4, v4
	v_add_co_u32_e32 v4, vcc, v2, v4
	v_addc_co_u32_e32 v5, vcc, 0, v3, vcc
	v_mov_b32_e32 v2, s6
	v_mov_b32_e32 v3, s7
	flat_store_dwordx4 v[4:5], v[0:3]
	ds_read_b64 v[2:3], v41 offset:16976
	ds_read_b32 v6, v41 offset:17004
	s_branch .LBB0_576
.LBB0_582:                              ;   in Loop: Header=BB0_577 Depth=2
                                        ; implicit-def: $vgpr4
	s_branch .LBB0_579
.LBB0_583:                              ;   in Loop: Header=BB0_82 Depth=1
	s_cbranch_execz .LBB0_82
	s_branch .LBB0_68
.LBB0_584:                              ;   in Loop: Header=BB0_82 Depth=1
	ds_write_b64 v41, v[4:5] offset:16976
.LBB0_585:                              ;   in Loop: Header=BB0_82 Depth=1
	s_or_b64 exec, exec, s[4:5]
	s_mov_b32 s16, 0
	v_mov_b32_e32 v9, v46
                                        ; implicit-def: $vgpr0_vgpr1_vgpr2_vgpr3
	s_branch .LBB0_588
.LBB0_586:                              ;   in Loop: Header=BB0_588 Depth=2
	s_or_b64 exec, exec, s[10:11]
	s_mov_b32 s9, s12
	v_mov_b32_e32 v4, v9
.LBB0_587:                              ;   in Loop: Header=BB0_588 Depth=2
	s_andn2_b64 vcc, exec, s[6:7]
	s_mov_b32 s12, s9
	v_mov_b32_e32 v9, v4
	s_cbranch_vccz .LBB0_81
.LBB0_588:                              ;   Parent Loop BB0_82 Depth=1
                                        ; =>  This Inner Loop Header: Depth=2
	s_ashr_i32 s13, s12, 31
	s_lshl_b64 s[4:5], s[12:13], 4
	s_add_u32 s4, s36, s4
	s_addc_u32 s5, s37, s5
	s_load_dwordx4 s[8:11], s[4:5], 0x30
	s_waitcnt lgkmcnt(0)
	v_and_b32_e32 v5, s11, v44
	v_and_b32_e32 v4, s10, v43
	v_cmp_ne_u64_e32 vcc, 0, v[4:5]
	s_and_saveexec_b64 s[4:5], vcc
	s_cbranch_execz .LBB0_590
; %bb.589:                              ;   in Loop: Header=BB0_588 Depth=2
	v_and_b32_e32 v5, s10, v56
	v_and_b32_e32 v4, s11, v57
	v_bcnt_u32_b32 v5, v5, 0
	v_bcnt_u32_b32 v4, v4, v5
	v_add_u32_e32 v4, v47, v4
	ds_write_b8 v4, v46
.LBB0_590:                              ;   in Loop: Header=BB0_588 Depth=2
	s_or_b64 exec, exec, s[4:5]
	s_bcnt1_i32_b64 s17, s[10:11]
	s_bfe_u32 s13, s8, 0x2000f
	s_cmp_lt_i32 s13, 1
	s_mov_b64 s[4:5], -1
                                        ; implicit-def: $vgpr10
                                        ; implicit-def: $vgpr11
                                        ; implicit-def: $vgpr4
                                        ; implicit-def: $vgpr12
	s_cbranch_scc1 .LBB0_598
; %bb.591:                              ;   in Loop: Header=BB0_588 Depth=2
	s_cmp_lg_u32 s13, 1
                                        ; implicit-def: $vgpr10
                                        ; implicit-def: $vgpr11
                                        ; implicit-def: $vgpr4
	s_cbranch_scc0 .LBB0_593
; %bb.592:                              ;   in Loop: Header=BB0_588 Depth=2
	v_mul_hi_i32 v4, v9, s68
	s_mov_b64 s[4:5], 0
	v_lshrrev_b32_e32 v5, 31, v4
	v_ashrrev_i32_e32 v4, 3, v4
	v_add_u32_e32 v10, v4, v5
	v_mul_lo_u32 v5, v10, 20
	v_mul_u32_u24_e64 v4, s17, 20
	v_sub_u32_e32 v11, v9, v5
.LBB0_593:                              ;   in Loop: Header=BB0_588 Depth=2
	s_andn2_b64 vcc, exec, s[4:5]
	s_movk_i32 s6, 0x140
	s_cbranch_vccnz .LBB0_595
; %bb.594:                              ;   in Loop: Header=BB0_588 Depth=2
	v_ashrrev_i32_e32 v4, 31, v9
	v_lshrrev_b32_e32 v4, 29, v4
	v_add_u32_e32 v4, v9, v4
	s_lshl_b32 s4, s17, 3
	v_ashrrev_i32_e32 v10, 3, v4
	v_and_b32_e32 v4, -8, v4
	v_sub_u32_e32 v11, v9, v4
	s_movk_i32 s6, 0x80
	v_mov_b32_e32 v4, s4
.LBB0_595:                              ;   in Loop: Header=BB0_588 Depth=2
	v_mov_b32_e32 v12, s6
	s_cbranch_execz .LBB0_599
.LBB0_596:                              ;   in Loop: Header=BB0_588 Depth=2
	v_cmp_eq_u32_e64 s[4:5], 0, v9
	s_and_saveexec_b64 s[6:7], s[4:5]
	s_cbranch_execz .LBB0_600
.LBB0_597:                              ;   in Loop: Header=BB0_588 Depth=2
	ds_write_b32 v41, v12 offset:17008
	s_or_b64 exec, exec, s[6:7]
	v_cmp_lt_i32_e32 vcc, v9, v4
	s_and_saveexec_b64 s[10:11], vcc
	s_cbranch_execz .LBB0_608
	s_branch .LBB0_601
.LBB0_598:                              ;   in Loop: Header=BB0_588 Depth=2
	s_andn2_b64 vcc, exec, s[4:5]
	s_cbranch_vccnz .LBB0_596
.LBB0_599:                              ;   in Loop: Header=BB0_588 Depth=2
	v_ashrrev_i32_e32 v4, 31, v9
	v_lshrrev_b32_e32 v4, 30, v4
	v_add_u32_e32 v4, v9, v4
	s_lshl_b32 s4, s17, 2
	v_ashrrev_i32_e32 v10, 2, v4
	v_and_b32_e32 v4, -4, v4
	v_sub_u32_e32 v11, v9, v4
	v_mov_b32_e32 v12, 64
	v_mov_b32_e32 v4, s4
	v_cmp_eq_u32_e64 s[4:5], 0, v9
	s_and_saveexec_b64 s[6:7], s[4:5]
	s_cbranch_execnz .LBB0_597
.LBB0_600:                              ;   in Loop: Header=BB0_588 Depth=2
	s_or_b64 exec, exec, s[6:7]
	v_cmp_lt_i32_e32 vcc, v9, v4
	s_and_saveexec_b64 s[10:11], vcc
	s_cbranch_execz .LBB0_608
.LBB0_601:                              ;   in Loop: Header=BB0_588 Depth=2
	ds_read_u8 v4, v41 offset:16472
	v_add_u32_e32 v5, v47, v10
	ds_read_u8 v14, v5
	v_lshlrev_b32_e32 v13, 4, v11
	s_waitcnt lgkmcnt(0)
	v_cmp_ne_u32_e64 s[6:7], 0, v4
	s_and_b64 vcc, exec, s[6:7]
	s_cbranch_vccz .LBB0_604
; %bb.602:                              ;   in Loop: Header=BB0_588 Depth=2
	s_mov_b64 s[14:15], -1
	s_and_b64 vcc, exec, s[6:7]
                                        ; implicit-def: $vgpr4_vgpr5_vgpr6_vgpr7
                                        ; implicit-def: $vgpr8
	s_cbranch_vccz .LBB0_605
.LBB0_603:                              ;   in Loop: Header=BB0_588 Depth=2
	ds_read_b32 v6, v41 offset:16476
	ds_read_b64 v[4:5], v41 offset:16480
	v_mul_u32_u24_e32 v7, v12, v14
	v_lshlrev_b32_e32 v8, 4, v11
	v_add3_u32 v7, v8, s9, v7
	s_waitcnt lgkmcnt(0)
	v_and_b32_e32 v6, v6, v7
	v_add_co_u32_e32 v4, vcc, v4, v6
	v_addc_co_u32_e32 v5, vcc, 0, v5, vcc
	flat_load_dwordx4 v[4:7], v[4:5]
	s_cbranch_execz .LBB0_606
	s_branch .LBB0_607
.LBB0_604:                              ;   in Loop: Header=BB0_588 Depth=2
	v_lshlrev_b32_e32 v0, 4, v11
	v_mul_u32_u24_e32 v1, v12, v14
	v_add3_u32 v0, v0, s9, v1
	global_load_dwordx4 v[0:3], v0, s[36:37]
	s_mov_b64 s[14:15], -1
	s_and_b64 vcc, exec, s[6:7]
                                        ; implicit-def: $vgpr4_vgpr5_vgpr6_vgpr7
                                        ; implicit-def: $vgpr8
	s_cbranch_vccnz .LBB0_603
.LBB0_605:                              ;   in Loop: Header=BB0_588 Depth=2
	s_andn2_b64 vcc, exec, s[14:15]
	s_cbranch_vccnz .LBB0_607
.LBB0_606:                              ;   in Loop: Header=BB0_588 Depth=2
	s_waitcnt vmcnt(0) lgkmcnt(0)
	v_mov_b32_e32 v7, v3
	v_mov_b32_e32 v8, v13
	;; [unrolled: 1-line block ×5, first 2 shown]
.LBB0_607:                              ;   in Loop: Header=BB0_588 Depth=2
	s_waitcnt vmcnt(0)
	v_add_u32_e32 v0, s16, v10
	v_mad_u64_u32 v[0:1], s[6:7], v0, v12, v[8:9]
	s_waitcnt lgkmcnt(0)
	ds_write_b128 v0, v[4:7] offset:18704
	v_mov_b32_e32 v0, v4
	v_mov_b32_e32 v1, v5
	;; [unrolled: 1-line block ×4, first 2 shown]
.LBB0_608:                              ;   in Loop: Header=BB0_588 Depth=2
	s_or_b64 exec, exec, s[10:11]
	s_bitcmp0_b32 s8, 14
	s_cselect_b64 s[6:7], -1, 0
	s_mov_b64 s[10:11], -1
	s_and_b64 vcc, exec, s[6:7]
	v_readfirstlane_b32 s9, v0
                                        ; implicit-def: $vgpr4
	s_cbranch_vccnz .LBB0_610
; %bb.609:                              ;   in Loop: Header=BB0_588 Depth=2
	v_mov_b32_e32 v4, s66
	v_cmp_gt_i32_e32 vcc, 64, v9
	s_and_b32 s9, s8, 0x3fff
	v_cndmask_b32_e32 v4, 0, v4, vcc
	s_add_i32 s9, s9, s12
	v_add3_u32 v4, v9, v4, s69
	s_add_i32 s16, s16, s17
	s_cbranch_execnz .LBB0_587
	s_branch .LBB0_611
.LBB0_610:                              ;   in Loop: Header=BB0_588 Depth=2
	s_andn2_b64 vcc, exec, s[10:11]
	s_add_i32 s16, s16, s17
	s_cbranch_vccnz .LBB0_587
.LBB0_611:                              ;   in Loop: Header=BB0_588 Depth=2
	s_and_saveexec_b64 s[10:11], s[4:5]
	s_cbranch_execz .LBB0_586
; %bb.612:                              ;   in Loop: Header=BB0_588 Depth=2
	s_and_b32 s4, s8, 0x3fff
	s_add_i32 s5, s4, s12
	s_cmp_lg_u32 s4, 0
	s_cselect_b32 s4, s5, -1
	v_mov_b32_e32 v4, s12
	v_mov_b32_e32 v5, s4
	ds_write_b64 v41, v[4:5] offset:16992
	v_mov_b32_e32 v4, s13
	ds_write_b8 v41, v4 offset:17000
	v_mov_b32_e32 v4, s16
	s_lshr_b32 s4, s8, 17
	ds_write_b32 v41, v4 offset:17004
	v_mov_b32_e32 v4, s4
	v_mov_b32_e32 v9, 0
	ds_write_b16 v41, v4 offset:17002
	s_branch .LBB0_586
	.section	.rodata,"a",@progbits
	.p2align	6, 0x0
	.amdhsa_kernel _Z23ncclDevKernel_Generic_124ncclDevKernelArgsStorageILm4096EE
		.amdhsa_group_segment_fixed_size 19744
		.amdhsa_private_segment_fixed_size 0
		.amdhsa_kernarg_size 4352
		.amdhsa_user_sgpr_count 14
		.amdhsa_user_sgpr_private_segment_buffer 1
		.amdhsa_user_sgpr_dispatch_ptr 1
		.amdhsa_user_sgpr_queue_ptr 1
		.amdhsa_user_sgpr_kernarg_segment_ptr 1
		.amdhsa_user_sgpr_dispatch_id 1
		.amdhsa_user_sgpr_flat_scratch_init 1
		.amdhsa_user_sgpr_private_segment_size 0
		.amdhsa_uses_dynamic_stack 1
		.amdhsa_system_sgpr_private_segment_wavefront_offset 1
		.amdhsa_system_sgpr_workgroup_id_x 1
		.amdhsa_system_sgpr_workgroup_id_y 1
		.amdhsa_system_sgpr_workgroup_id_z 1
		.amdhsa_system_sgpr_workgroup_info 0
		.amdhsa_system_vgpr_workitem_id 2
		.amdhsa_next_free_vgpr max(totalnumvgprs(_Z23ncclDevKernel_Generic_124ncclDevKernelArgsStorageILm4096EE.num_agpr, _Z23ncclDevKernel_Generic_124ncclDevKernelArgsStorageILm4096EE.num_vgpr), 1, 65)
		.amdhsa_next_free_sgpr max(_Z23ncclDevKernel_Generic_124ncclDevKernelArgsStorageILm4096EE.numbered_sgpr+6, 1, 102)-6
		.amdhsa_reserve_vcc 1
		.amdhsa_reserve_flat_scratch 1
		.amdhsa_float_round_mode_32 0
		.amdhsa_float_round_mode_16_64 0
		.amdhsa_float_denorm_mode_32 3
		.amdhsa_float_denorm_mode_16_64 3
		.amdhsa_dx10_clamp 1
		.amdhsa_ieee_mode 1
		.amdhsa_fp16_overflow 0
		.amdhsa_exception_fp_ieee_invalid_op 0
		.amdhsa_exception_fp_denorm_src 0
		.amdhsa_exception_fp_ieee_div_zero 0
		.amdhsa_exception_fp_ieee_overflow 0
		.amdhsa_exception_fp_ieee_underflow 0
		.amdhsa_exception_fp_ieee_inexact 0
		.amdhsa_exception_int_div_zero 0
	.end_amdhsa_kernel
	.text
.Lfunc_end0:
	.size	_Z23ncclDevKernel_Generic_124ncclDevKernelArgsStorageILm4096EE, .Lfunc_end0-_Z23ncclDevKernel_Generic_124ncclDevKernelArgsStorageILm4096EE
                                        ; -- End function
	.set _Z23ncclDevKernel_Generic_124ncclDevKernelArgsStorageILm4096EE.num_vgpr, max(58, amdgpu.max_num_vgpr)
	.set _Z23ncclDevKernel_Generic_124ncclDevKernelArgsStorageILm4096EE.num_agpr, max(0, amdgpu.max_num_agpr)
	.set _Z23ncclDevKernel_Generic_124ncclDevKernelArgsStorageILm4096EE.numbered_sgpr, max(72, amdgpu.max_num_sgpr)
	.set _Z23ncclDevKernel_Generic_124ncclDevKernelArgsStorageILm4096EE.num_named_barrier, max(0, amdgpu.max_num_named_barrier)
	.set _Z23ncclDevKernel_Generic_124ncclDevKernelArgsStorageILm4096EE.private_seg_size, 0
	.set _Z23ncclDevKernel_Generic_124ncclDevKernelArgsStorageILm4096EE.uses_vcc, 1
	.set _Z23ncclDevKernel_Generic_124ncclDevKernelArgsStorageILm4096EE.uses_flat_scratch, 1
	.set _Z23ncclDevKernel_Generic_124ncclDevKernelArgsStorageILm4096EE.has_dyn_sized_stack, 1
	.set _Z23ncclDevKernel_Generic_124ncclDevKernelArgsStorageILm4096EE.has_recursion, 1
	.set _Z23ncclDevKernel_Generic_124ncclDevKernelArgsStorageILm4096EE.has_indirect_call, 1
	.section	.AMDGPU.csdata,"",@progbits
; Kernel info:
; codeLenInByte = 15440
; TotalNumSgprs: _Z23ncclDevKernel_Generic_124ncclDevKernelArgsStorageILm4096EE.numbered_sgpr+6
; NumVgprs: _Z23ncclDevKernel_Generic_124ncclDevKernelArgsStorageILm4096EE.num_vgpr
; ScratchSize: 0
; MemoryBound: 0
; FloatMode: 240
; IeeeMode: 1
; LDSByteSize: 19744 bytes/workgroup (compile time only)
; SGPRBlocks: (alignto(max(max(_Z23ncclDevKernel_Generic_124ncclDevKernelArgsStorageILm4096EE.numbered_sgpr+extrasgprs(_Z23ncclDevKernel_Generic_124ncclDevKernelArgsStorageILm4096EE.uses_vcc, _Z23ncclDevKernel_Generic_124ncclDevKernelArgsStorageILm4096EE.uses_flat_scratch, 1), 1, 102), 1), 8)/8)-1
; VGPRBlocks: (alignto(max(max(totalnumvgprs(_Z23ncclDevKernel_Generic_124ncclDevKernelArgsStorageILm4096EE.num_agpr, _Z23ncclDevKernel_Generic_124ncclDevKernelArgsStorageILm4096EE.num_vgpr), 1, 65), 1), 4)/4)-1
; NumSGPRsForWavesPerEU: max(_Z23ncclDevKernel_Generic_124ncclDevKernelArgsStorageILm4096EE.numbered_sgpr+6, 1, 102)
; NumVGPRsForWavesPerEU: max(totalnumvgprs(_Z23ncclDevKernel_Generic_124ncclDevKernelArgsStorageILm4096EE.num_agpr, _Z23ncclDevKernel_Generic_124ncclDevKernelArgsStorageILm4096EE.num_vgpr), 1, 65)
; Occupancy: occupancy(10, 4, 256, 8, 3, max(_Z23ncclDevKernel_Generic_124ncclDevKernelArgsStorageILm4096EE.numbered_sgpr+extrasgprs(_Z23ncclDevKernel_Generic_124ncclDevKernelArgsStorageILm4096EE.uses_vcc, _Z23ncclDevKernel_Generic_124ncclDevKernelArgsStorageILm4096EE.uses_flat_scratch, 1), 1, 102), max(totalnumvgprs(_Z23ncclDevKernel_Generic_124ncclDevKernelArgsStorageILm4096EE.num_agpr, _Z23ncclDevKernel_Generic_124ncclDevKernelArgsStorageILm4096EE.num_vgpr), 1, 65))
; WaveLimiterHint : 0
; COMPUTE_PGM_RSRC2:SCRATCH_EN: 1
; COMPUTE_PGM_RSRC2:USER_SGPR: 14
; COMPUTE_PGM_RSRC2:TRAP_HANDLER: 0
; COMPUTE_PGM_RSRC2:TGID_X_EN: 1
; COMPUTE_PGM_RSRC2:TGID_Y_EN: 1
; COMPUTE_PGM_RSRC2:TGID_Z_EN: 1
; COMPUTE_PGM_RSRC2:TIDIG_COMP_CNT: 2
	.text
	.protected	_Z23ncclDevKernel_Generic_224ncclDevKernelArgsStorageILm4096EE ; -- Begin function _Z23ncclDevKernel_Generic_224ncclDevKernelArgsStorageILm4096EE
	.globl	_Z23ncclDevKernel_Generic_224ncclDevKernelArgsStorageILm4096EE
	.p2align	8
	.type	_Z23ncclDevKernel_Generic_224ncclDevKernelArgsStorageILm4096EE,@function
_Z23ncclDevKernel_Generic_224ncclDevKernelArgsStorageILm4096EE: ; @_Z23ncclDevKernel_Generic_224ncclDevKernelArgsStorageILm4096EE
; %bb.0:
	s_add_u32 flat_scratch_lo, s12, s17
	s_addc_u32 flat_scratch_hi, s13, 0
	s_add_u32 s0, s0, s17
	s_addc_u32 s1, s1, 0
	s_mov_b32 s33, s16
	s_mov_b32 s54, s15
	;; [unrolled: 1-line block ×3, first 2 shown]
	s_mov_b64 s[34:35], s[10:11]
	s_mov_b64 s[36:37], s[8:9]
	;; [unrolled: 1-line block ×4, first 2 shown]
	v_cmp_gt_u32_e32 vcc, 12, v0
	s_mov_b32 s32, 0
	s_and_saveexec_b64 s[4:5], vcc
	s_cbranch_execz .LBB1_2
; %bb.1:
	v_lshlrev_b32_e32 v3, 2, v0
	global_load_dword v4, v3, s[36:37]
	s_waitcnt vmcnt(0)
	ds_write_b32 v3, v4 offset:16448
.LBB1_2:
	s_or_b64 exec, exec, s[4:5]
	s_load_dword s18, s[36:37], 0x100c
	v_lshrrev_b32_e32 v14, 6, v0
	v_cmp_lt_i32_e32 vcc, 0, v14
	s_and_saveexec_b64 s[4:5], vcc
	s_xor_b64 s[4:5], exec, s[4:5]
	s_cbranch_execz .LBB1_16
; %bb.3:
	v_cmp_lt_i32_e32 vcc, 2, v14
	s_and_saveexec_b64 s[6:7], vcc
	s_xor_b64 s[6:7], exec, s[6:7]
	s_cbranch_execz .LBB1_8
; %bb.4:
	v_cmp_eq_u32_e32 vcc, 3, v14
	s_and_saveexec_b64 s[8:9], vcc
	s_cbranch_execz .LBB1_7
; %bb.5:
	s_movk_i32 s10, 0xc0
	v_cmp_eq_u32_e32 vcc, s10, v0
	s_and_b64 exec, exec, vcc
; %bb.6:
	v_mov_b32_e32 v3, 0
	ds_write_b32 v3, v3 offset:16500
.LBB1_7:
	s_or_b64 exec, exec, s[8:9]
.LBB1_8:
	s_andn2_saveexec_b64 s[6:7], s[6:7]
	s_cbranch_execz .LBB1_15
; %bb.9:
	v_cmp_eq_u32_e32 vcc, 1, v14
	s_and_saveexec_b64 s[8:9], vcc
	s_cbranch_execz .LBB1_14
; %bb.10:
	s_movk_i32 s10, 0x44
	v_cmp_gt_u32_e32 vcc, s10, v0
	s_and_b64 exec, exec, vcc
	s_cbranch_execz .LBB1_14
; %bb.11:
	v_cmp_eq_u32_e32 vcc, 64, v0
	s_and_saveexec_b64 s[10:11], vcc
; %bb.12:
	v_mov_b32_e32 v3, 0
	v_mov_b32_e32 v4, v3
	ds_write_b64 v3, v[3:4] offset:19736
; %bb.13:
	s_or_b64 exec, exec, s[10:11]
	s_movk_i32 s10, 0x160
	v_mov_b32_e32 v3, 0xffffeb98
	v_mad_u32_u24 v5, v0, s10, v3
	v_mov_b32_e32 v3, 0
	v_mov_b32_e32 v4, v3
	ds_write_b64 v5, v[3:4]
.LBB1_14:
	s_or_b64 exec, exec, s[8:9]
.LBB1_15:
	s_or_b64 exec, exec, s[6:7]
.LBB1_16:
	s_andn2_saveexec_b64 s[4:5], s[4:5]
	s_cbranch_execz .LBB1_22
; %bb.17:
	s_load_dwordx2 s[8:9], s[36:37], 0x8
	v_lshlrev_b64 v[3:4], v0, 1
	s_mov_b64 s[6:7], 0
	v_add_co_u32_e32 v5, vcc, -1, v3
	v_addc_co_u32_e32 v6, vcc, -1, v4, vcc
	s_waitcnt lgkmcnt(0)
	v_and_b32_e32 v8, s9, v4
	v_and_b32_e32 v7, s8, v3
	v_cmp_eq_u64_e64 s[12:13], 0, v[7:8]
	v_cmp_ne_u64_e32 vcc, 0, v[7:8]
	s_and_saveexec_b64 s[10:11], vcc
	s_cbranch_execz .LBB1_54
; %bb.18:
	v_and_b32_e32 v8, s8, v5
	v_and_b32_e32 v7, s9, v6
	v_bcnt_u32_b32 v8, v8, 0
	v_bcnt_u32_b32 v7, v7, v8
	v_cmp_ne_u32_e32 vcc, s55, v7
	s_andn2_b64 s[12:13], s[12:13], exec
	s_and_b64 s[14:15], vcc, exec
	s_mov_b64 s[6:7], exec
	s_or_b64 s[12:13], s[12:13], s[14:15]
	s_or_b64 exec, exec, s[10:11]
	v_mov_b32_e32 v7, 0
	s_and_saveexec_b64 s[10:11], s[12:13]
	s_cbranch_execnz .LBB1_55
.LBB1_19:
	s_or_b64 exec, exec, s[10:11]
	s_and_saveexec_b64 s[8:9], s[6:7]
.LBB1_20:
	v_add_u32_e32 v3, v7, v0
	v_mov_b32_e32 v4, 0
	ds_write_b32 v4, v3 offset:16496
.LBB1_21:
	s_or_b64 exec, exec, s[8:9]
.LBB1_22:
	s_or_b64 exec, exec, s[4:5]
	v_cmp_eq_u32_e64 s[50:51], 0, v0
	s_waitcnt lgkmcnt(0)
	s_barrier
	s_and_saveexec_b64 s[4:5], s[50:51]
	s_cbranch_execz .LBB1_24
; %bb.23:
	v_mov_b32_e32 v5, 0
	ds_read_b32 v6, v5 offset:16496
	ds_read_b64 v[3:4], v5 offset:16448
	s_movk_i32 s6, 0x180
	s_waitcnt lgkmcnt(1)
	v_mul_lo_u32 v7, v6, s6
	v_mul_hi_i32 v6, v6, s6
	s_waitcnt lgkmcnt(0)
	v_add_co_u32_e32 v3, vcc, v3, v7
	v_addc_co_u32_e32 v4, vcc, v4, v6, vcc
	flat_load_dwordx2 v[3:4], v[3:4] offset:464
	ds_write_b32 v5, v5 offset:16500
	s_waitcnt vmcnt(0) lgkmcnt(0)
	ds_write_b64 v5, v[3:4] offset:16976
.LBB1_24:
	s_or_b64 exec, exec, s[4:5]
	s_and_b32 s66, 0xffff, s18
	v_cmp_lt_i32_e32 vcc, 0, v14
	s_and_saveexec_b64 s[4:5], vcc
	s_xor_b64 s[8:9], exec, s[4:5]
	s_cbranch_execz .LBB1_63
; %bb.25:
	v_cmp_ne_u32_e32 vcc, 1, v14
	s_and_saveexec_b64 s[4:5], vcc
	s_xor_b64 s[10:11], exec, s[4:5]
	s_cbranch_execz .LBB1_58
; %bb.26:
	v_add_u32_e32 v20, 0xffffff80, v0
	v_lshrrev_b16_e32 v3, 10, v20
	v_add_u16_e32 v3, v20, v3
	v_and_b32_e32 v3, 0xffffffc0, v3
	v_sub_u16_e32 v15, v20, v3
	v_bfe_i32 v3, v15, 0, 16
	v_lshlrev_b64 v[11:12], v3, 1
	s_add_i32 s20, s66, 0xffffff80
	v_add_co_u32_e32 v17, vcc, -1, v11
	s_movk_i32 s21, 0xffc0
	v_mul_u32_u24_e32 v16, 0x1010, v14
	v_addc_co_u32_e32 v18, vcc, -1, v12, vcc
	s_mov_b32 s22, 0
	v_mov_b32_e32 v19, 0
	s_mov_b32 s23, 0x66666667
	s_mov_b32 s12, s55
                                        ; implicit-def: $vgpr3_vgpr4_vgpr5_vgpr6
	s_branch .LBB1_29
.LBB1_27:                               ;   in Loop: Header=BB1_29 Depth=1
	s_or_b64 exec, exec, s[16:17]
	s_mov_b32 s15, s12
	v_mov_b32_e32 v7, v20
.LBB1_28:                               ;   in Loop: Header=BB1_29 Depth=1
	s_andn2_b64 vcc, exec, s[6:7]
	s_mov_b32 s12, s15
	v_mov_b32_e32 v20, v7
	s_cbranch_vccz .LBB1_58
.LBB1_29:                               ; =>This Inner Loop Header: Depth=1
	s_ashr_i32 s13, s12, 31
	s_lshl_b64 s[4:5], s[12:13], 4
	s_add_u32 s4, s36, s4
	s_addc_u32 s5, s37, s5
	s_load_dwordx2 s[6:7], s[4:5], 0x38
	s_waitcnt lgkmcnt(0)
	v_and_b32_e32 v8, s7, v12
	v_and_b32_e32 v7, s6, v11
	v_cmp_ne_u64_e32 vcc, 0, v[7:8]
	s_and_saveexec_b64 s[14:15], vcc
	s_cbranch_execz .LBB1_31
; %bb.30:                               ;   in Loop: Header=BB1_29 Depth=1
	v_and_b32_e32 v8, s6, v17
	v_and_b32_e32 v7, s7, v18
	v_bcnt_u32_b32 v8, v8, 0
	v_bcnt_u32_b32 v7, v7, v8
	v_add_u32_e32 v7, v16, v7
	ds_write_b8 v7, v15
.LBB1_31:                               ;   in Loop: Header=BB1_29 Depth=1
	s_or_b64 exec, exec, s[14:15]
	s_load_dwordx2 s[14:15], s[4:5], 0x30
	s_bcnt1_i32_b64 s24, s[6:7]
	s_mov_b64 s[4:5], -1
                                        ; implicit-def: $vgpr21
                                        ; implicit-def: $vgpr22
                                        ; implicit-def: $vgpr7
                                        ; implicit-def: $vgpr23
	s_waitcnt lgkmcnt(0)
	s_bfe_u32 s13, s14, 0x2000f
	s_cmp_lt_i32 s13, 1
	s_cbranch_scc1 .LBB1_39
; %bb.32:                               ;   in Loop: Header=BB1_29 Depth=1
	s_cmp_lg_u32 s13, 1
                                        ; implicit-def: $vgpr21
                                        ; implicit-def: $vgpr22
                                        ; implicit-def: $vgpr7
	s_cbranch_scc0 .LBB1_34
; %bb.33:                               ;   in Loop: Header=BB1_29 Depth=1
	v_mul_hi_i32 v7, v20, s23
	s_mov_b64 s[4:5], 0
	v_lshrrev_b32_e32 v8, 31, v7
	v_ashrrev_i32_e32 v7, 3, v7
	v_add_u32_e32 v21, v7, v8
	v_mul_lo_u32 v8, v21, 20
	v_mul_u32_u24_e64 v7, s24, 20
	v_sub_u32_e32 v22, v20, v8
.LBB1_34:                               ;   in Loop: Header=BB1_29 Depth=1
	s_andn2_b64 vcc, exec, s[4:5]
	s_movk_i32 s6, 0x140
	s_cbranch_vccnz .LBB1_36
; %bb.35:                               ;   in Loop: Header=BB1_29 Depth=1
	v_ashrrev_i32_e32 v7, 31, v20
	v_lshrrev_b32_e32 v7, 29, v7
	v_add_u32_e32 v7, v20, v7
	s_lshl_b32 s4, s24, 3
	v_ashrrev_i32_e32 v21, 3, v7
	v_and_b32_e32 v7, -8, v7
	v_sub_u32_e32 v22, v20, v7
	s_movk_i32 s6, 0x80
	v_mov_b32_e32 v7, s4
.LBB1_36:                               ;   in Loop: Header=BB1_29 Depth=1
	v_mov_b32_e32 v23, s6
	s_cbranch_execz .LBB1_40
.LBB1_37:                               ;   in Loop: Header=BB1_29 Depth=1
	v_cmp_eq_u32_e64 s[4:5], 0, v20
	s_and_saveexec_b64 s[6:7], s[4:5]
	s_cbranch_execz .LBB1_41
.LBB1_38:                               ;   in Loop: Header=BB1_29 Depth=1
	ds_write_b32 v19, v23 offset:17008
	s_or_b64 exec, exec, s[6:7]
	v_cmp_lt_i32_e32 vcc, v20, v7
	s_and_saveexec_b64 s[16:17], vcc
	s_cbranch_execz .LBB1_49
	s_branch .LBB1_42
.LBB1_39:                               ;   in Loop: Header=BB1_29 Depth=1
	s_andn2_b64 vcc, exec, s[4:5]
	s_cbranch_vccnz .LBB1_37
.LBB1_40:                               ;   in Loop: Header=BB1_29 Depth=1
	v_ashrrev_i32_e32 v7, 31, v20
	v_lshrrev_b32_e32 v7, 30, v7
	v_add_u32_e32 v7, v20, v7
	s_lshl_b32 s4, s24, 2
	v_ashrrev_i32_e32 v21, 2, v7
	v_and_b32_e32 v7, -4, v7
	v_sub_u32_e32 v22, v20, v7
	v_mov_b32_e32 v23, 64
	v_mov_b32_e32 v7, s4
	v_cmp_eq_u32_e64 s[4:5], 0, v20
	s_and_saveexec_b64 s[6:7], s[4:5]
	s_cbranch_execnz .LBB1_38
.LBB1_41:                               ;   in Loop: Header=BB1_29 Depth=1
	s_or_b64 exec, exec, s[6:7]
	v_cmp_lt_i32_e32 vcc, v20, v7
	s_and_saveexec_b64 s[16:17], vcc
	s_cbranch_execz .LBB1_49
.LBB1_42:                               ;   in Loop: Header=BB1_29 Depth=1
	ds_read_u8 v7, v19 offset:16472
	v_add_u32_e32 v8, v16, v21
	ds_read_u8 v24, v8
	s_waitcnt lgkmcnt(1)
	v_cmp_ne_u32_e64 s[6:7], 0, v7
	s_and_b64 vcc, exec, s[6:7]
	s_cbranch_vccz .LBB1_45
; %bb.43:                               ;   in Loop: Header=BB1_29 Depth=1
	s_mov_b64 s[18:19], -1
	s_and_b64 vcc, exec, s[6:7]
                                        ; implicit-def: $vgpr7_vgpr8_vgpr9_vgpr10
                                        ; implicit-def: $vgpr13
	s_cbranch_vccz .LBB1_46
.LBB1_44:                               ;   in Loop: Header=BB1_29 Depth=1
	ds_read_b32 v9, v19 offset:16476
	ds_read_b64 v[7:8], v19 offset:16480
	s_waitcnt lgkmcnt(2)
	v_mul_u32_u24_e32 v10, v23, v24
	v_lshlrev_b32_e32 v13, 4, v22
	v_add3_u32 v10, v13, s15, v10
	s_waitcnt lgkmcnt(1)
	v_and_b32_e32 v9, v9, v10
	s_waitcnt lgkmcnt(0)
	v_add_co_u32_e32 v7, vcc, v7, v9
	v_addc_co_u32_e32 v8, vcc, 0, v8, vcc
	flat_load_dwordx4 v[7:10], v[7:8]
	s_cbranch_execz .LBB1_47
	s_branch .LBB1_48
.LBB1_45:                               ;   in Loop: Header=BB1_29 Depth=1
	v_lshlrev_b32_e32 v3, 4, v22
	s_waitcnt lgkmcnt(0)
	v_mul_u32_u24_e32 v4, v23, v24
	v_add3_u32 v3, v3, s15, v4
	global_load_dwordx4 v[3:6], v3, s[36:37]
	s_mov_b64 s[18:19], -1
	s_and_b64 vcc, exec, s[6:7]
                                        ; implicit-def: $vgpr7_vgpr8_vgpr9_vgpr10
                                        ; implicit-def: $vgpr13
	s_cbranch_vccnz .LBB1_44
.LBB1_46:                               ;   in Loop: Header=BB1_29 Depth=1
	s_andn2_b64 vcc, exec, s[18:19]
	s_cbranch_vccnz .LBB1_48
.LBB1_47:                               ;   in Loop: Header=BB1_29 Depth=1
	s_waitcnt vmcnt(0) lgkmcnt(0)
	v_mov_b32_e32 v10, v6
	v_lshlrev_b32_e32 v13, 4, v22
	v_mov_b32_e32 v9, v5
	v_mov_b32_e32 v8, v4
	;; [unrolled: 1-line block ×3, first 2 shown]
.LBB1_48:                               ;   in Loop: Header=BB1_29 Depth=1
	s_waitcnt vmcnt(0)
	v_add_u32_e32 v3, s22, v21
	v_mad_u64_u32 v[3:4], s[6:7], v3, v23, v[13:14]
	s_waitcnt lgkmcnt(0)
	ds_write_b128 v3, v[7:10] offset:18704
	v_mov_b32_e32 v3, v7
	v_mov_b32_e32 v4, v8
	;; [unrolled: 1-line block ×4, first 2 shown]
.LBB1_49:                               ;   in Loop: Header=BB1_29 Depth=1
	s_or_b64 exec, exec, s[16:17]
	s_bitcmp0_b32 s14, 14
	s_cselect_b64 s[6:7], -1, 0
	s_mov_b64 s[16:17], -1
	s_and_b64 vcc, exec, s[6:7]
	v_readfirstlane_b32 s15, v0
                                        ; implicit-def: $vgpr7
	s_cbranch_vccnz .LBB1_51
; %bb.50:                               ;   in Loop: Header=BB1_29 Depth=1
	v_mov_b32_e32 v7, s20
	v_cmp_gt_i32_e32 vcc, 64, v20
	s_and_b32 s15, s14, 0x3fff
	v_cndmask_b32_e32 v7, 0, v7, vcc
	s_add_i32 s15, s15, s12
	v_add3_u32 v7, v20, v7, s21
	s_add_i32 s22, s22, s24
	s_cbranch_execnz .LBB1_28
	s_branch .LBB1_52
.LBB1_51:                               ;   in Loop: Header=BB1_29 Depth=1
	s_andn2_b64 vcc, exec, s[16:17]
	s_add_i32 s22, s22, s24
	s_cbranch_vccnz .LBB1_28
.LBB1_52:                               ;   in Loop: Header=BB1_29 Depth=1
	s_and_saveexec_b64 s[16:17], s[4:5]
	s_cbranch_execz .LBB1_27
; %bb.53:                               ;   in Loop: Header=BB1_29 Depth=1
	s_and_b32 s4, s14, 0x3fff
	s_add_i32 s5, s4, s12
	s_cmp_lg_u32 s4, 0
	s_cselect_b32 s4, s5, -1
	v_mov_b32_e32 v7, s12
	v_mov_b32_e32 v8, s4
	ds_write_b64 v19, v[7:8] offset:16992
	v_mov_b32_e32 v7, s13
	ds_write_b8 v19, v7 offset:17000
	v_mov_b32_e32 v7, s22
	s_lshr_b32 s4, s14, 17
	ds_write_b32 v19, v7 offset:17004
	v_mov_b32_e32 v7, s4
	v_mov_b32_e32 v20, 0
	ds_write_b16 v19, v7 offset:17002
	s_branch .LBB1_27
.LBB1_54:
	s_or_b64 exec, exec, s[10:11]
	v_mov_b32_e32 v7, 0
	s_and_saveexec_b64 s[10:11], s[12:13]
	s_cbranch_execz .LBB1_19
.LBB1_55:
	s_load_dwordx2 s[12:13], s[36:37], 0x10
	s_mov_b64 s[14:15], 0
                                        ; implicit-def: $sgpr19
	s_waitcnt lgkmcnt(0)
	v_and_b32_e32 v4, s13, v4
	v_and_b32_e32 v3, s12, v3
	v_cmp_ne_u64_e32 vcc, 0, v[3:4]
	s_and_saveexec_b64 s[16:17], vcc
	s_xor_b64 s[16:17], exec, s[16:17]
; %bb.56:
	v_and_b32_e32 v4, s12, v5
	v_and_b32_e32 v3, s13, v6
	v_bcnt_u32_b32 v4, v4, 0
	s_bcnt1_i32_b64 s19, s[8:9]
	v_bcnt_u32_b32 v3, v3, v4
	v_add_u32_e32 v3, s19, v3
	v_cmp_eq_u32_e32 vcc, s55, v3
	s_and_b64 s[14:15], vcc, exec
; %bb.57:
	s_or_b64 exec, exec, s[16:17]
	s_andn2_b64 s[6:7], s[6:7], exec
	s_and_b64 s[8:9], s[14:15], exec
	v_mov_b32_e32 v7, s19
	s_or_b64 s[6:7], s[6:7], s[8:9]
	s_or_b64 exec, exec, s[10:11]
	s_and_saveexec_b64 s[8:9], s[6:7]
	s_cbranch_execnz .LBB1_20
	s_branch .LBB1_21
.LBB1_58:
	s_andn2_saveexec_b64 s[4:5], s[10:11]
	s_cbranch_execz .LBB1_62
; %bb.59:
	s_movk_i32 s6, 0x58
	v_cmp_gt_u32_e32 vcc, s6, v0
	s_and_saveexec_b64 s[6:7], vcc
	s_cbranch_execz .LBB1_61
; %bb.60:
	v_mov_b32_e32 v3, 0
	ds_read_b32 v5, v3 offset:16496
	ds_read_b64 v[3:4], v3 offset:16448
	s_movk_i32 s10, 0x180
	v_lshlrev_b32_e32 v7, 4, v0
	s_waitcnt lgkmcnt(1)
	v_mul_lo_u32 v6, v5, s10
	v_mul_hi_i32 v5, v5, s10
	s_waitcnt lgkmcnt(0)
	v_add_co_u32_e32 v3, vcc, v3, v6
	v_addc_co_u32_e32 v4, vcc, v4, v5, vcc
	v_add_u32_e32 v5, 0xfffffc00, v7
	v_ashrrev_i32_e32 v6, 31, v5
	v_add_co_u32_e32 v3, vcc, v3, v5
	v_addc_co_u32_e32 v4, vcc, v4, v6, vcc
	flat_load_dwordx4 v[3:6], v[3:4] offset:96
	s_waitcnt vmcnt(0) lgkmcnt(0)
	ds_write_b128 v7, v[3:6] offset:15584
.LBB1_61:
	s_or_b64 exec, exec, s[6:7]
.LBB1_62:
	s_or_b64 exec, exec, s[4:5]
.LBB1_63:
	s_andn2_saveexec_b64 s[4:5], s[8:9]
	s_cbranch_execz .LBB1_67
; %bb.64:
	v_cmp_gt_u32_e32 vcc, 6, v0
	s_and_saveexec_b64 s[6:7], vcc
	s_cbranch_execz .LBB1_66
; %bb.65:
	v_mov_b32_e32 v3, 0
	ds_read_b64 v[3:4], v3 offset:16448
	v_lshlrev_b32_e32 v7, 4, v0
	s_waitcnt lgkmcnt(0)
	v_add_co_u32_e32 v3, vcc, v3, v7
	v_addc_co_u32_e32 v4, vcc, 0, v4, vcc
	flat_load_dwordx4 v[3:6], v[3:4]
	s_waitcnt vmcnt(0) lgkmcnt(0)
	ds_write_b128 v7, v[3:6] offset:16512
.LBB1_66:
	s_or_b64 exec, exec, s[6:7]
.LBB1_67:
	s_or_b64 exec, exec, s[4:5]
	v_mov_b32_e32 v41, 0
	s_waitcnt lgkmcnt(0)
	s_barrier
	ds_read_b32 v3, v41 offset:16500
	s_waitcnt lgkmcnt(0)
	v_cmp_ne_u32_e32 vcc, 0, v3
	s_cbranch_vccz .LBB1_80
.LBB1_68:
	s_and_saveexec_b64 s[4:5], s[50:51]
	s_cbranch_execz .LBB1_79
; %bb.69:
	v_mov_b32_e32 v6, 0
	ds_read_b64 v[2:3], v6 offset:16976
	ds_read_b32 v7, v6 offset:17004
	s_waitcnt lgkmcnt(0)
	v_add_co_u32_e32 v0, vcc, 1, v2
	v_addc_co_u32_e32 v1, vcc, 0, v3, vcc
	v_ashrrev_i32_e32 v5, 31, v7
	v_add_co_u32_e32 v4, vcc, v2, v7
	v_addc_co_u32_e32 v5, vcc, v3, v5, vcc
	v_cmp_gt_u64_e32 vcc, v[0:1], v[4:5]
	s_cbranch_vccnz .LBB1_78
; %bb.70:
	ds_read_u8 v8, v6 offset:17000
	s_movk_i32 s6, 0x494e
	s_movk_i32 s7, 0x491a
	s_branch .LBB1_72
.LBB1_71:                               ;   in Loop: Header=BB1_72 Depth=1
	v_add_co_u32_e32 v0, vcc, 1, v0
	v_addc_co_u32_e32 v1, vcc, 0, v1, vcc
	s_waitcnt lgkmcnt(0)
	v_ashrrev_i32_e32 v5, 31, v7
	v_add_co_u32_e32 v4, vcc, v2, v7
	v_addc_co_u32_e32 v5, vcc, v3, v5, vcc
	v_cmp_le_u64_e32 vcc, v[0:1], v[4:5]
	s_add_i32 s6, s6, 64
	s_addk_i32 s7, 0x80
	s_cbranch_vccz .LBB1_78
.LBB1_72:                               ; =>This Inner Loop Header: Depth=1
	s_waitcnt lgkmcnt(0)
	v_cmp_ne_u32_sdwa s[4:5], v8, v6 src0_sel:BYTE_0 src1_sel:DWORD
	s_and_b64 vcc, exec, s[4:5]
	s_cbranch_vccz .LBB1_77
; %bb.73:                               ;   in Loop: Header=BB1_72 Depth=1
	v_mov_b32_e32 v4, s7
	ds_read_u8 v4, v4
	s_waitcnt lgkmcnt(0)
	v_and_b32_e32 v4, 1, v4
	s_cbranch_execnz .LBB1_75
.LBB1_74:                               ;   in Loop: Header=BB1_72 Depth=1
	v_mov_b32_e32 v4, s6
	ds_read_u16 v4, v4
	s_waitcnt lgkmcnt(0)
	v_bfe_u32 v4, v4, 6, 1
.LBB1_75:                               ;   in Loop: Header=BB1_72 Depth=1
	v_cmp_eq_u32_e32 vcc, 0, v4
	s_cbranch_vccnz .LBB1_71
; %bb.76:                               ;   in Loop: Header=BB1_72 Depth=1
	s_memrealtime s[4:5]
	ds_read_u8 v8, v6 offset:17000
	ds_read_b32 v2, v6 offset:16496
	ds_read_b64 v[4:5], v6 offset:16600
	s_waitcnt lgkmcnt(0)
	v_ashrrev_i32_e32 v3, 31, v2
	v_lshlrev_b64 v[2:3], 10, v[2:3]
	v_add_co_u32_e32 v2, vcc, v4, v2
	v_and_b32_e32 v4, 63, v0
	v_addc_co_u32_e32 v3, vcc, v5, v3, vcc
	v_lshlrev_b32_e32 v4, 4, v4
	v_add_co_u32_e32 v4, vcc, v2, v4
	v_addc_co_u32_e32 v5, vcc, 0, v3, vcc
	v_mov_b32_e32 v2, s4
	v_mov_b32_e32 v3, s5
	flat_store_dwordx4 v[4:5], v[0:3]
	ds_read_b64 v[2:3], v6 offset:16976
	ds_read_b32 v7, v6 offset:17004
	s_branch .LBB1_71
.LBB1_77:                               ;   in Loop: Header=BB1_72 Depth=1
                                        ; implicit-def: $vgpr4
	s_branch .LBB1_74
.LBB1_78:
	v_mov_b32_e32 v2, 0
	ds_read_b32 v3, v2 offset:16496
	ds_read_b64 v[0:1], v2 offset:16448
	s_movk_i32 s4, 0x180
	ds_write_b64 v2, v[4:5] offset:16976
	s_waitcnt lgkmcnt(0)
	v_mul_lo_u32 v6, v3, s4
	v_mul_hi_i32 v2, v3, s4
	v_add_co_u32_e32 v0, vcc, v0, v6
	v_addc_co_u32_e32 v1, vcc, v1, v2, vcc
	flat_store_dwordx2 v[0:1], v[4:5] offset:464
.LBB1_79:
	s_endpgm
.LBB1_80:
	s_movk_i32 s4, 0x44
	v_lshlrev_b64 v[43:44], v0, 1
	v_cmp_eq_u32_e32 vcc, 1, v14
	v_cmp_gt_u32_e64 s[4:5], s4, v0
	s_and_b64 s[64:65], vcc, s[4:5]
	s_movk_i32 s4, 0x160
	v_mov_b32_e32 v3, 0xffffeb98
	v_add_co_u32_e32 v56, vcc, -1, v43
	v_lshlrev_b32_e32 v2, 20, v2
	v_lshlrev_b32_e32 v1, 10, v1
	v_cmp_eq_u32_e64 s[52:53], 64, v0
	v_mad_u32_u24 v45, v0, s4, v3
	v_and_b32_e32 v46, 63, v0
	v_mul_u32_u24_e32 v47, 0x1010, v14
	v_addc_co_u32_e32 v57, vcc, -1, v44, vcc
	s_movk_i32 s67, 0x58
	v_or3_b32 v40, v0, v1, v2
	s_mov_b32 s68, 0x66666667
	s_movk_i32 s69, 0xffc0
	s_branch .LBB1_82
.LBB1_81:                               ;   in Loop: Header=BB1_82 Depth=1
	s_waitcnt vmcnt(0) lgkmcnt(0)
	s_barrier
	ds_read_b32 v0, v41 offset:16500
	s_waitcnt lgkmcnt(0)
	v_cmp_ne_u32_e64 s[4:5], 0, v0
	s_and_b64 vcc, exec, s[4:5]
	s_cbranch_vccnz .LBB1_68
.LBB1_82:                               ; =>This Loop Header: Depth=1
                                        ;     Child Loop BB1_86 Depth 2
                                        ;     Child Loop BB1_577 Depth 2
	;; [unrolled: 1-line block ×3, first 2 shown]
	s_and_saveexec_b64 s[4:5], s[50:51]
	s_cbranch_execz .LBB1_92
; %bb.83:                               ;   in Loop: Header=BB1_82 Depth=1
	ds_read_b64 v[2:3], v41 offset:16976
	ds_read_b32 v4, v41 offset:17004
	s_waitcnt lgkmcnt(0)
	v_add_co_u32_e32 v0, vcc, 1, v2
	v_addc_co_u32_e32 v1, vcc, 0, v3, vcc
	s_waitcnt lgkmcnt(0)
	v_ashrrev_i32_e32 v6, 31, v4
	v_add_co_u32_e32 v5, vcc, v2, v4
	v_addc_co_u32_e32 v6, vcc, v3, v6, vcc
	v_cmp_gt_u64_e32 vcc, v[0:1], v[5:6]
	s_cbranch_vccnz .LBB1_92
; %bb.84:                               ;   in Loop: Header=BB1_82 Depth=1
	ds_read_u8 v5, v41 offset:17000
	s_movk_i32 s8, 0x494e
	s_movk_i32 s9, 0x491a
	s_branch .LBB1_86
.LBB1_85:                               ;   in Loop: Header=BB1_86 Depth=2
	v_add_co_u32_e32 v0, vcc, 1, v0
	v_addc_co_u32_e32 v1, vcc, 0, v1, vcc
	s_waitcnt lgkmcnt(0)
	v_ashrrev_i32_e32 v7, 31, v4
	v_add_co_u32_e32 v6, vcc, v2, v4
	v_addc_co_u32_e32 v7, vcc, v3, v7, vcc
	v_cmp_le_u64_e32 vcc, v[0:1], v[6:7]
	s_add_i32 s8, s8, 64
	s_addk_i32 s9, 0x80
	s_cbranch_vccz .LBB1_92
.LBB1_86:                               ;   Parent Loop BB1_82 Depth=1
                                        ; =>  This Inner Loop Header: Depth=2
	s_waitcnt lgkmcnt(0)
	v_cmp_ne_u32_sdwa s[6:7], v5, v41 src0_sel:BYTE_0 src1_sel:DWORD
	s_and_b64 vcc, exec, s[6:7]
	s_cbranch_vccz .LBB1_91
; %bb.87:                               ;   in Loop: Header=BB1_86 Depth=2
	v_mov_b32_e32 v6, s9
	ds_read_u8 v6, v6
	s_waitcnt lgkmcnt(0)
	v_and_b32_e32 v6, 1, v6
	s_cbranch_execnz .LBB1_89
.LBB1_88:                               ;   in Loop: Header=BB1_86 Depth=2
	v_mov_b32_e32 v6, s8
	ds_read_u16 v6, v6
	s_waitcnt lgkmcnt(0)
	v_bfe_u32 v6, v6, 6, 1
.LBB1_89:                               ;   in Loop: Header=BB1_86 Depth=2
	v_cmp_eq_u32_e32 vcc, 0, v6
	s_cbranch_vccnz .LBB1_85
; %bb.90:                               ;   in Loop: Header=BB1_86 Depth=2
	s_memrealtime s[6:7]
	ds_read_u8 v5, v41 offset:17000
	ds_read_b32 v2, v41 offset:16496
	ds_read_b64 v[6:7], v41 offset:16592
	v_and_b32_e32 v4, 63, v0
	v_lshlrev_b32_e32 v4, 4, v4
	s_waitcnt lgkmcnt(0)
	v_ashrrev_i32_e32 v3, 31, v2
	v_lshlrev_b64 v[2:3], 10, v[2:3]
	v_add_co_u32_e32 v2, vcc, v6, v2
	v_addc_co_u32_e32 v3, vcc, v7, v3, vcc
	v_add_co_u32_e32 v6, vcc, v2, v4
	v_addc_co_u32_e32 v7, vcc, 0, v3, vcc
	v_mov_b32_e32 v2, s6
	v_mov_b32_e32 v3, s7
	flat_store_dwordx4 v[6:7], v[0:3]
	ds_read_b64 v[2:3], v41 offset:16976
	ds_read_b32 v4, v41 offset:17004
	s_branch .LBB1_85
.LBB1_91:                               ;   in Loop: Header=BB1_86 Depth=2
                                        ; implicit-def: $vgpr6
	s_branch .LBB1_88
.LBB1_92:                               ;   in Loop: Header=BB1_82 Depth=1
	s_or_b64 exec, exec, s[4:5]
	ds_read_u16 v0, v41 offset:17002
	s_waitcnt lgkmcnt(0)
	v_cmp_gt_u32_sdwa s[4:5], v0, s67 src0_sel:WORD_0 src1_sel:DWORD
	v_readfirstlane_b32 s70, v0
	s_and_b64 vcc, exec, s[4:5]
	s_mov_b64 s[4:5], -1
	s_cbranch_vccz .LBB1_257
; %bb.93:                               ;   in Loop: Header=BB1_82 Depth=1
	s_and_b32 s71, 0xffff, s70
	s_cmpk_gt_u32 s71, 0x85
	s_cbranch_scc0 .LBB1_172
; %bb.94:                               ;   in Loop: Header=BB1_82 Depth=1
	s_cmpk_gt_u32 s71, 0x9b
	s_cbranch_scc0 .LBB1_134
; %bb.95:                               ;   in Loop: Header=BB1_82 Depth=1
	;; [unrolled: 3-line block ×6, first 2 shown]
	s_add_u32 s8, s36, 0x1000
	s_addc_u32 s9, s37, 0
	s_getpc_b64 s[16:17]
	s_add_u32 s16, s16, _Z50ncclDevFunc_AlltoAllPivot_RING_SIMPLE_Sum_i8_0_0_2v@rel32@lo+4
	s_addc_u32 s17, s17, _Z50ncclDevFunc_AlltoAllPivot_RING_SIMPLE_Sum_i8_0_0_2v@rel32@hi+12
	s_mov_b64 s[4:5], s[48:49]
	s_mov_b64 s[6:7], s[38:39]
	;; [unrolled: 1-line block ×3, first 2 shown]
	s_mov_b32 s12, s55
	s_mov_b32 s13, s54
	;; [unrolled: 1-line block ×3, first 2 shown]
	v_mov_b32_e32 v31, v40
	s_swappc_b64 s[30:31], s[16:17]
	s_mov_b64 s[4:5], 0
.LBB1_100:                              ;   in Loop: Header=BB1_82 Depth=1
	s_andn2_b64 vcc, exec, s[4:5]
	s_cbranch_vccnz .LBB1_102
; %bb.101:                              ;   in Loop: Header=BB1_82 Depth=1
	s_add_u32 s8, s36, 0x1000
	s_addc_u32 s9, s37, 0
	s_getpc_b64 s[16:17]
	s_add_u32 s16, s16, _Z45ncclDevFunc_SendRecv_RING_SIMPLE_Sum_i8_0_0_2v@rel32@lo+4
	s_addc_u32 s17, s17, _Z45ncclDevFunc_SendRecv_RING_SIMPLE_Sum_i8_0_0_2v@rel32@hi+12
	s_mov_b64 s[4:5], s[48:49]
	s_mov_b64 s[6:7], s[38:39]
	;; [unrolled: 1-line block ×3, first 2 shown]
	s_mov_b32 s12, s55
	s_mov_b32 s13, s54
	;; [unrolled: 1-line block ×3, first 2 shown]
	v_mov_b32_e32 v31, v40
	s_swappc_b64 s[30:31], s[16:17]
.LBB1_102:                              ;   in Loop: Header=BB1_82 Depth=1
	s_mov_b64 s[4:5], 0
.LBB1_103:                              ;   in Loop: Header=BB1_82 Depth=1
	s_andn2_b64 vcc, exec, s[4:5]
	s_cbranch_vccnz .LBB1_108
; %bb.104:                              ;   in Loop: Header=BB1_82 Depth=1
	s_cmpk_lg_i32 s71, 0xad
	s_mov_b64 s[4:5], -1
	s_cbranch_scc0 .LBB1_106
; %bb.105:                              ;   in Loop: Header=BB1_82 Depth=1
	s_add_u32 s8, s36, 0x1000
	s_addc_u32 s9, s37, 0
	s_getpc_b64 s[16:17]
	s_add_u32 s16, s16, _Z54ncclDevFunc_AllReduce_RING_SIMPLE_SumPostDiv_u64_0_0_2v@rel32@lo+4
	s_addc_u32 s17, s17, _Z54ncclDevFunc_AllReduce_RING_SIMPLE_SumPostDiv_u64_0_0_2v@rel32@hi+12
	s_mov_b64 s[4:5], s[48:49]
	s_mov_b64 s[6:7], s[38:39]
	;; [unrolled: 1-line block ×3, first 2 shown]
	s_mov_b32 s12, s55
	s_mov_b32 s13, s54
	;; [unrolled: 1-line block ×3, first 2 shown]
	v_mov_b32_e32 v31, v40
	s_swappc_b64 s[30:31], s[16:17]
	s_mov_b64 s[4:5], 0
.LBB1_106:                              ;   in Loop: Header=BB1_82 Depth=1
	s_andn2_b64 vcc, exec, s[4:5]
	s_cbranch_vccnz .LBB1_108
; %bb.107:                              ;   in Loop: Header=BB1_82 Depth=1
	s_add_u32 s8, s36, 0x1000
	s_addc_u32 s9, s37, 0
	s_getpc_b64 s[16:17]
	s_add_u32 s16, s16, _Z54ncclDevFunc_AllReduce_RING_SIMPLE_SumPostDiv_u32_0_0_2v@rel32@lo+4
	s_addc_u32 s17, s17, _Z54ncclDevFunc_AllReduce_RING_SIMPLE_SumPostDiv_u32_0_0_2v@rel32@hi+12
	s_mov_b64 s[4:5], s[48:49]
	s_mov_b64 s[6:7], s[38:39]
	;; [unrolled: 1-line block ×3, first 2 shown]
	s_mov_b32 s12, s55
	s_mov_b32 s13, s54
	;; [unrolled: 1-line block ×3, first 2 shown]
	v_mov_b32_e32 v31, v40
	s_swappc_b64 s[30:31], s[16:17]
.LBB1_108:                              ;   in Loop: Header=BB1_82 Depth=1
	s_mov_b64 s[4:5], 0
.LBB1_109:                              ;   in Loop: Header=BB1_82 Depth=1
	s_andn2_b64 vcc, exec, s[4:5]
	s_cbranch_vccnz .LBB1_117
; %bb.110:                              ;   in Loop: Header=BB1_82 Depth=1
	s_cmpk_gt_u32 s71, 0xa9
	s_mov_b64 s[4:5], -1
	s_cbranch_scc0 .LBB1_112
; %bb.111:                              ;   in Loop: Header=BB1_82 Depth=1
	s_add_u32 s8, s36, 0x1000
	s_addc_u32 s9, s37, 0
	s_getpc_b64 s[16:17]
	s_add_u32 s16, s16, _Z53ncclDevFunc_AllReduce_RING_SIMPLE_SumPostDiv_u8_0_0_2v@rel32@lo+4
	s_addc_u32 s17, s17, _Z53ncclDevFunc_AllReduce_RING_SIMPLE_SumPostDiv_u8_0_0_2v@rel32@hi+12
	s_mov_b64 s[4:5], s[48:49]
	s_mov_b64 s[6:7], s[38:39]
	s_mov_b64 s[10:11], s[34:35]
	s_mov_b32 s12, s55
	s_mov_b32 s13, s54
	;; [unrolled: 1-line block ×3, first 2 shown]
	v_mov_b32_e32 v31, v40
	s_swappc_b64 s[30:31], s[16:17]
	s_mov_b64 s[4:5], 0
.LBB1_112:                              ;   in Loop: Header=BB1_82 Depth=1
	s_andn2_b64 vcc, exec, s[4:5]
	s_cbranch_vccnz .LBB1_117
; %bb.113:                              ;   in Loop: Header=BB1_82 Depth=1
	s_cmpk_lg_i32 s71, 0xa7
	s_mov_b64 s[4:5], -1
	s_cbranch_scc0 .LBB1_115
; %bb.114:                              ;   in Loop: Header=BB1_82 Depth=1
	s_add_u32 s8, s36, 0x1000
	s_addc_u32 s9, s37, 0
	s_getpc_b64 s[16:17]
	s_add_u32 s16, s16, _Z56ncclDevFunc_AllReduce_RING_SIMPLE_PreMulSum_f8e5m2_0_0_2v@rel32@lo+4
	s_addc_u32 s17, s17, _Z56ncclDevFunc_AllReduce_RING_SIMPLE_PreMulSum_f8e5m2_0_0_2v@rel32@hi+12
	s_mov_b64 s[4:5], s[48:49]
	s_mov_b64 s[6:7], s[38:39]
	;; [unrolled: 1-line block ×3, first 2 shown]
	s_mov_b32 s12, s55
	s_mov_b32 s13, s54
	;; [unrolled: 1-line block ×3, first 2 shown]
	v_mov_b32_e32 v31, v40
	s_swappc_b64 s[30:31], s[16:17]
	s_mov_b64 s[4:5], 0
.LBB1_115:                              ;   in Loop: Header=BB1_82 Depth=1
	s_andn2_b64 vcc, exec, s[4:5]
	s_cbranch_vccnz .LBB1_117
; %bb.116:                              ;   in Loop: Header=BB1_82 Depth=1
	s_add_u32 s8, s36, 0x1000
	s_addc_u32 s9, s37, 0
	s_getpc_b64 s[16:17]
	s_add_u32 s16, s16, _Z56ncclDevFunc_AllReduce_RING_SIMPLE_PreMulSum_f8e4m3_0_0_2v@rel32@lo+4
	s_addc_u32 s17, s17, _Z56ncclDevFunc_AllReduce_RING_SIMPLE_PreMulSum_f8e4m3_0_0_2v@rel32@hi+12
	s_mov_b64 s[4:5], s[48:49]
	s_mov_b64 s[6:7], s[38:39]
	;; [unrolled: 1-line block ×3, first 2 shown]
	s_mov_b32 s12, s55
	s_mov_b32 s13, s54
	;; [unrolled: 1-line block ×3, first 2 shown]
	v_mov_b32_e32 v31, v40
	s_swappc_b64 s[30:31], s[16:17]
.LBB1_117:                              ;   in Loop: Header=BB1_82 Depth=1
	s_mov_b64 s[4:5], 0
.LBB1_118:                              ;   in Loop: Header=BB1_82 Depth=1
	s_andn2_b64 vcc, exec, s[4:5]
	s_cbranch_vccnz .LBB1_133
; %bb.119:                              ;   in Loop: Header=BB1_82 Depth=1
	s_cmpk_gt_u32 s71, 0xa0
	s_mov_b64 s[4:5], -1
	s_cbranch_scc0 .LBB1_128
; %bb.120:                              ;   in Loop: Header=BB1_82 Depth=1
	s_cmpk_gt_u32 s71, 0xa3
	s_cbranch_scc0 .LBB1_122
; %bb.121:                              ;   in Loop: Header=BB1_82 Depth=1
	s_add_u32 s8, s36, 0x1000
	s_addc_u32 s9, s37, 0
	s_getpc_b64 s[16:17]
	s_add_u32 s16, s16, _Z54ncclDevFunc_AllReduce_RING_SIMPLE_PreMulSum_bf16_0_1_2v@rel32@lo+4
	s_addc_u32 s17, s17, _Z54ncclDevFunc_AllReduce_RING_SIMPLE_PreMulSum_bf16_0_1_2v@rel32@hi+12
	s_mov_b64 s[4:5], s[48:49]
	s_mov_b64 s[6:7], s[38:39]
	;; [unrolled: 1-line block ×3, first 2 shown]
	s_mov_b32 s12, s55
	s_mov_b32 s13, s54
	;; [unrolled: 1-line block ×3, first 2 shown]
	v_mov_b32_e32 v31, v40
	s_swappc_b64 s[30:31], s[16:17]
	s_mov_b64 s[4:5], 0
.LBB1_122:                              ;   in Loop: Header=BB1_82 Depth=1
	s_andn2_b64 vcc, exec, s[4:5]
	s_cbranch_vccnz .LBB1_127
; %bb.123:                              ;   in Loop: Header=BB1_82 Depth=1
	s_cmpk_lg_i32 s71, 0xa1
	s_mov_b64 s[4:5], -1
	s_cbranch_scc0 .LBB1_125
; %bb.124:                              ;   in Loop: Header=BB1_82 Depth=1
	s_add_u32 s8, s36, 0x1000
	s_addc_u32 s9, s37, 0
	s_getpc_b64 s[16:17]
	s_add_u32 s16, s16, _Z54ncclDevFunc_AllReduce_RING_SIMPLE_PreMulSum_bf16_0_0_2v@rel32@lo+4
	s_addc_u32 s17, s17, _Z54ncclDevFunc_AllReduce_RING_SIMPLE_PreMulSum_bf16_0_0_2v@rel32@hi+12
	s_mov_b64 s[4:5], s[48:49]
	s_mov_b64 s[6:7], s[38:39]
	;; [unrolled: 1-line block ×3, first 2 shown]
	s_mov_b32 s12, s55
	s_mov_b32 s13, s54
	;; [unrolled: 1-line block ×3, first 2 shown]
	v_mov_b32_e32 v31, v40
	s_swappc_b64 s[30:31], s[16:17]
	s_mov_b64 s[4:5], 0
.LBB1_125:                              ;   in Loop: Header=BB1_82 Depth=1
	s_andn2_b64 vcc, exec, s[4:5]
	s_cbranch_vccnz .LBB1_127
; %bb.126:                              ;   in Loop: Header=BB1_82 Depth=1
	s_add_u32 s8, s36, 0x1000
	s_addc_u32 s9, s37, 0
	s_getpc_b64 s[16:17]
	s_add_u32 s16, s16, _Z53ncclDevFunc_AllReduce_RING_SIMPLE_PreMulSum_f64_0_0_2v@rel32@lo+4
	s_addc_u32 s17, s17, _Z53ncclDevFunc_AllReduce_RING_SIMPLE_PreMulSum_f64_0_0_2v@rel32@hi+12
	s_mov_b64 s[4:5], s[48:49]
	s_mov_b64 s[6:7], s[38:39]
	;; [unrolled: 1-line block ×3, first 2 shown]
	s_mov_b32 s12, s55
	s_mov_b32 s13, s54
	;; [unrolled: 1-line block ×3, first 2 shown]
	v_mov_b32_e32 v31, v40
	s_swappc_b64 s[30:31], s[16:17]
.LBB1_127:                              ;   in Loop: Header=BB1_82 Depth=1
	s_mov_b64 s[4:5], 0
.LBB1_128:                              ;   in Loop: Header=BB1_82 Depth=1
	s_andn2_b64 vcc, exec, s[4:5]
	s_cbranch_vccnz .LBB1_133
; %bb.129:                              ;   in Loop: Header=BB1_82 Depth=1
	s_cmpk_gt_u32 s71, 0x9d
	s_mov_b64 s[4:5], -1
	s_cbranch_scc0 .LBB1_131
; %bb.130:                              ;   in Loop: Header=BB1_82 Depth=1
	s_add_u32 s8, s36, 0x1000
	s_addc_u32 s9, s37, 0
	s_getpc_b64 s[16:17]
	s_add_u32 s16, s16, _Z53ncclDevFunc_AllReduce_RING_SIMPLE_PreMulSum_f32_0_0_2v@rel32@lo+4
	s_addc_u32 s17, s17, _Z53ncclDevFunc_AllReduce_RING_SIMPLE_PreMulSum_f32_0_0_2v@rel32@hi+12
	s_mov_b64 s[4:5], s[48:49]
	s_mov_b64 s[6:7], s[38:39]
	;; [unrolled: 1-line block ×3, first 2 shown]
	s_mov_b32 s12, s55
	s_mov_b32 s13, s54
	;; [unrolled: 1-line block ×3, first 2 shown]
	v_mov_b32_e32 v31, v40
	s_swappc_b64 s[30:31], s[16:17]
	s_mov_b64 s[4:5], 0
.LBB1_131:                              ;   in Loop: Header=BB1_82 Depth=1
	s_andn2_b64 vcc, exec, s[4:5]
	s_cbranch_vccnz .LBB1_133
; %bb.132:                              ;   in Loop: Header=BB1_82 Depth=1
	s_add_u32 s8, s36, 0x1000
	s_addc_u32 s9, s37, 0
	s_getpc_b64 s[16:17]
	s_add_u32 s16, s16, _Z53ncclDevFunc_AllReduce_RING_SIMPLE_PreMulSum_f16_0_0_2v@rel32@lo+4
	s_addc_u32 s17, s17, _Z53ncclDevFunc_AllReduce_RING_SIMPLE_PreMulSum_f16_0_0_2v@rel32@hi+12
	s_mov_b64 s[4:5], s[48:49]
	s_mov_b64 s[6:7], s[38:39]
	;; [unrolled: 1-line block ×3, first 2 shown]
	s_mov_b32 s12, s55
	s_mov_b32 s13, s54
	;; [unrolled: 1-line block ×3, first 2 shown]
	v_mov_b32_e32 v31, v40
	s_swappc_b64 s[30:31], s[16:17]
.LBB1_133:                              ;   in Loop: Header=BB1_82 Depth=1
	s_mov_b64 s[4:5], 0
.LBB1_134:                              ;   in Loop: Header=BB1_82 Depth=1
	s_andn2_b64 vcc, exec, s[4:5]
	s_cbranch_vccnz .LBB1_171
; %bb.135:                              ;   in Loop: Header=BB1_82 Depth=1
	s_cmpk_gt_u32 s71, 0x90
	s_mov_b64 s[4:5], -1
	s_cbranch_scc0 .LBB1_152
; %bb.136:                              ;   in Loop: Header=BB1_82 Depth=1
	s_cmpk_gt_u32 s71, 0x95
	s_cbranch_scc0 .LBB1_146
; %bb.137:                              ;   in Loop: Header=BB1_82 Depth=1
	s_cmpk_gt_u32 s71, 0x98
	s_cbranch_scc0 .LBB1_143
; %bb.138:                              ;   in Loop: Header=BB1_82 Depth=1
	s_cmpk_lg_i32 s71, 0x99
	s_cbranch_scc0 .LBB1_140
; %bb.139:                              ;   in Loop: Header=BB1_82 Depth=1
	s_add_u32 s8, s36, 0x1000
	s_addc_u32 s9, s37, 0
	s_getpc_b64 s[16:17]
	s_add_u32 s16, s16, _Z53ncclDevFunc_AllReduce_RING_SIMPLE_PreMulSum_u64_0_0_2v@rel32@lo+4
	s_addc_u32 s17, s17, _Z53ncclDevFunc_AllReduce_RING_SIMPLE_PreMulSum_u64_0_0_2v@rel32@hi+12
	s_mov_b64 s[4:5], s[48:49]
	s_mov_b64 s[6:7], s[38:39]
	;; [unrolled: 1-line block ×3, first 2 shown]
	s_mov_b32 s12, s55
	s_mov_b32 s13, s54
	;; [unrolled: 1-line block ×3, first 2 shown]
	v_mov_b32_e32 v31, v40
	s_swappc_b64 s[30:31], s[16:17]
	s_mov_b64 s[4:5], 0
.LBB1_140:                              ;   in Loop: Header=BB1_82 Depth=1
	s_andn2_b64 vcc, exec, s[4:5]
	s_cbranch_vccnz .LBB1_142
; %bb.141:                              ;   in Loop: Header=BB1_82 Depth=1
	s_add_u32 s8, s36, 0x1000
	s_addc_u32 s9, s37, 0
	s_getpc_b64 s[16:17]
	s_add_u32 s16, s16, _Z53ncclDevFunc_AllReduce_RING_SIMPLE_PreMulSum_u32_0_0_2v@rel32@lo+4
	s_addc_u32 s17, s17, _Z53ncclDevFunc_AllReduce_RING_SIMPLE_PreMulSum_u32_0_0_2v@rel32@hi+12
	s_mov_b64 s[4:5], s[48:49]
	s_mov_b64 s[6:7], s[38:39]
	;; [unrolled: 1-line block ×3, first 2 shown]
	s_mov_b32 s12, s55
	s_mov_b32 s13, s54
	;; [unrolled: 1-line block ×3, first 2 shown]
	v_mov_b32_e32 v31, v40
	s_swappc_b64 s[30:31], s[16:17]
.LBB1_142:                              ;   in Loop: Header=BB1_82 Depth=1
	s_mov_b64 s[4:5], 0
.LBB1_143:                              ;   in Loop: Header=BB1_82 Depth=1
	s_andn2_b64 vcc, exec, s[4:5]
	s_cbranch_vccnz .LBB1_145
; %bb.144:                              ;   in Loop: Header=BB1_82 Depth=1
	s_add_u32 s8, s36, 0x1000
	s_addc_u32 s9, s37, 0
	s_getpc_b64 s[16:17]
	s_add_u32 s16, s16, _Z52ncclDevFunc_AllReduce_RING_SIMPLE_PreMulSum_u8_0_0_2v@rel32@lo+4
	s_addc_u32 s17, s17, _Z52ncclDevFunc_AllReduce_RING_SIMPLE_PreMulSum_u8_0_0_2v@rel32@hi+12
	s_mov_b64 s[4:5], s[48:49]
	s_mov_b64 s[6:7], s[38:39]
	;; [unrolled: 1-line block ×3, first 2 shown]
	s_mov_b32 s12, s55
	s_mov_b32 s13, s54
	;; [unrolled: 1-line block ×3, first 2 shown]
	v_mov_b32_e32 v31, v40
	s_swappc_b64 s[30:31], s[16:17]
.LBB1_145:                              ;   in Loop: Header=BB1_82 Depth=1
	s_mov_b64 s[4:5], 0
.LBB1_146:                              ;   in Loop: Header=BB1_82 Depth=1
	s_andn2_b64 vcc, exec, s[4:5]
	s_cbranch_vccnz .LBB1_151
; %bb.147:                              ;   in Loop: Header=BB1_82 Depth=1
	s_cmpk_gt_u32 s71, 0x93
	s_mov_b64 s[4:5], -1
	s_cbranch_scc0 .LBB1_149
; %bb.148:                              ;   in Loop: Header=BB1_82 Depth=1
	s_add_u32 s8, s36, 0x1000
	s_addc_u32 s9, s37, 0
	s_getpc_b64 s[16:17]
	s_add_u32 s16, s16, _Z53ncclDevFunc_AllReduce_RING_SIMPLE_MinMax_f8e5m2_0_0_2v@rel32@lo+4
	s_addc_u32 s17, s17, _Z53ncclDevFunc_AllReduce_RING_SIMPLE_MinMax_f8e5m2_0_0_2v@rel32@hi+12
	s_mov_b64 s[4:5], s[48:49]
	s_mov_b64 s[6:7], s[38:39]
	;; [unrolled: 1-line block ×3, first 2 shown]
	s_mov_b32 s12, s55
	s_mov_b32 s13, s54
	;; [unrolled: 1-line block ×3, first 2 shown]
	v_mov_b32_e32 v31, v40
	s_swappc_b64 s[30:31], s[16:17]
	s_mov_b64 s[4:5], 0
.LBB1_149:                              ;   in Loop: Header=BB1_82 Depth=1
	s_andn2_b64 vcc, exec, s[4:5]
	s_cbranch_vccnz .LBB1_151
; %bb.150:                              ;   in Loop: Header=BB1_82 Depth=1
	s_add_u32 s8, s36, 0x1000
	s_addc_u32 s9, s37, 0
	s_getpc_b64 s[16:17]
	s_add_u32 s16, s16, _Z53ncclDevFunc_AllReduce_RING_SIMPLE_MinMax_f8e4m3_0_0_2v@rel32@lo+4
	s_addc_u32 s17, s17, _Z53ncclDevFunc_AllReduce_RING_SIMPLE_MinMax_f8e4m3_0_0_2v@rel32@hi+12
	s_mov_b64 s[4:5], s[48:49]
	s_mov_b64 s[6:7], s[38:39]
	;; [unrolled: 1-line block ×3, first 2 shown]
	s_mov_b32 s12, s55
	s_mov_b32 s13, s54
	;; [unrolled: 1-line block ×3, first 2 shown]
	v_mov_b32_e32 v31, v40
	s_swappc_b64 s[30:31], s[16:17]
.LBB1_151:                              ;   in Loop: Header=BB1_82 Depth=1
	s_mov_b64 s[4:5], 0
.LBB1_152:                              ;   in Loop: Header=BB1_82 Depth=1
	s_andn2_b64 vcc, exec, s[4:5]
	s_cbranch_vccnz .LBB1_171
; %bb.153:                              ;   in Loop: Header=BB1_82 Depth=1
	s_cmpk_gt_u32 s71, 0x8a
	s_mov_b64 s[4:5], -1
	s_cbranch_scc0 .LBB1_166
; %bb.154:                              ;   in Loop: Header=BB1_82 Depth=1
	s_cmpk_gt_u32 s71, 0x8d
	s_cbranch_scc0 .LBB1_160
; %bb.155:                              ;   in Loop: Header=BB1_82 Depth=1
	s_cmpk_eq_i32 s71, 0x90
	s_cbranch_scc1 .LBB1_157
; %bb.156:                              ;   in Loop: Header=BB1_82 Depth=1
	s_add_u32 s8, s36, 0x1000
	s_addc_u32 s9, s37, 0
	s_getpc_b64 s[16:17]
	s_add_u32 s16, s16, _Z51ncclDevFunc_AllReduce_RING_SIMPLE_MinMax_bf16_0_0_2v@rel32@lo+4
	s_addc_u32 s17, s17, _Z51ncclDevFunc_AllReduce_RING_SIMPLE_MinMax_bf16_0_0_2v@rel32@hi+12
	s_mov_b64 s[4:5], s[48:49]
	s_mov_b64 s[6:7], s[38:39]
	;; [unrolled: 1-line block ×3, first 2 shown]
	s_mov_b32 s12, s55
	s_mov_b32 s13, s54
	;; [unrolled: 1-line block ×3, first 2 shown]
	v_mov_b32_e32 v31, v40
	s_swappc_b64 s[30:31], s[16:17]
	s_mov_b64 s[4:5], 0
.LBB1_157:                              ;   in Loop: Header=BB1_82 Depth=1
	s_andn2_b64 vcc, exec, s[4:5]
	s_cbranch_vccnz .LBB1_159
; %bb.158:                              ;   in Loop: Header=BB1_82 Depth=1
	s_add_u32 s8, s36, 0x1000
	s_addc_u32 s9, s37, 0
	s_getpc_b64 s[16:17]
	s_add_u32 s16, s16, _Z51ncclDevFunc_AllReduce_RING_SIMPLE_MinMax_bf16_0_1_2v@rel32@lo+4
	s_addc_u32 s17, s17, _Z51ncclDevFunc_AllReduce_RING_SIMPLE_MinMax_bf16_0_1_2v@rel32@hi+12
	s_mov_b64 s[4:5], s[48:49]
	s_mov_b64 s[6:7], s[38:39]
	;; [unrolled: 1-line block ×3, first 2 shown]
	s_mov_b32 s12, s55
	s_mov_b32 s13, s54
	;; [unrolled: 1-line block ×3, first 2 shown]
	v_mov_b32_e32 v31, v40
	s_swappc_b64 s[30:31], s[16:17]
.LBB1_159:                              ;   in Loop: Header=BB1_82 Depth=1
	s_mov_b64 s[4:5], 0
.LBB1_160:                              ;   in Loop: Header=BB1_82 Depth=1
	s_andn2_b64 vcc, exec, s[4:5]
	s_cbranch_vccnz .LBB1_165
; %bb.161:                              ;   in Loop: Header=BB1_82 Depth=1
	s_cmpk_lg_i32 s71, 0x8b
	s_mov_b64 s[4:5], -1
	s_cbranch_scc0 .LBB1_163
; %bb.162:                              ;   in Loop: Header=BB1_82 Depth=1
	s_add_u32 s8, s36, 0x1000
	s_addc_u32 s9, s37, 0
	s_getpc_b64 s[16:17]
	s_add_u32 s16, s16, _Z50ncclDevFunc_AllReduce_RING_SIMPLE_MinMax_f64_0_0_2v@rel32@lo+4
	s_addc_u32 s17, s17, _Z50ncclDevFunc_AllReduce_RING_SIMPLE_MinMax_f64_0_0_2v@rel32@hi+12
	s_mov_b64 s[4:5], s[48:49]
	s_mov_b64 s[6:7], s[38:39]
	;; [unrolled: 1-line block ×3, first 2 shown]
	s_mov_b32 s12, s55
	s_mov_b32 s13, s54
	;; [unrolled: 1-line block ×3, first 2 shown]
	v_mov_b32_e32 v31, v40
	s_swappc_b64 s[30:31], s[16:17]
	s_mov_b64 s[4:5], 0
.LBB1_163:                              ;   in Loop: Header=BB1_82 Depth=1
	s_andn2_b64 vcc, exec, s[4:5]
	s_cbranch_vccnz .LBB1_165
; %bb.164:                              ;   in Loop: Header=BB1_82 Depth=1
	s_add_u32 s8, s36, 0x1000
	s_addc_u32 s9, s37, 0
	s_getpc_b64 s[16:17]
	s_add_u32 s16, s16, _Z50ncclDevFunc_AllReduce_RING_SIMPLE_MinMax_f32_0_0_2v@rel32@lo+4
	s_addc_u32 s17, s17, _Z50ncclDevFunc_AllReduce_RING_SIMPLE_MinMax_f32_0_0_2v@rel32@hi+12
	s_mov_b64 s[4:5], s[48:49]
	s_mov_b64 s[6:7], s[38:39]
	;; [unrolled: 1-line block ×3, first 2 shown]
	s_mov_b32 s12, s55
	s_mov_b32 s13, s54
	s_mov_b32 s14, s33
	v_mov_b32_e32 v31, v40
	s_swappc_b64 s[30:31], s[16:17]
.LBB1_165:                              ;   in Loop: Header=BB1_82 Depth=1
	s_mov_b64 s[4:5], 0
.LBB1_166:                              ;   in Loop: Header=BB1_82 Depth=1
	s_andn2_b64 vcc, exec, s[4:5]
	s_cbranch_vccnz .LBB1_171
; %bb.167:                              ;   in Loop: Header=BB1_82 Depth=1
	s_cmpk_gt_u32 s71, 0x87
	s_mov_b64 s[4:5], -1
	s_cbranch_scc0 .LBB1_169
; %bb.168:                              ;   in Loop: Header=BB1_82 Depth=1
	s_add_u32 s8, s36, 0x1000
	s_addc_u32 s9, s37, 0
	s_getpc_b64 s[16:17]
	s_add_u32 s16, s16, _Z50ncclDevFunc_AllReduce_RING_SIMPLE_MinMax_f16_0_0_2v@rel32@lo+4
	s_addc_u32 s17, s17, _Z50ncclDevFunc_AllReduce_RING_SIMPLE_MinMax_f16_0_0_2v@rel32@hi+12
	s_mov_b64 s[4:5], s[48:49]
	s_mov_b64 s[6:7], s[38:39]
	;; [unrolled: 1-line block ×3, first 2 shown]
	s_mov_b32 s12, s55
	s_mov_b32 s13, s54
	;; [unrolled: 1-line block ×3, first 2 shown]
	v_mov_b32_e32 v31, v40
	s_swappc_b64 s[30:31], s[16:17]
	s_mov_b64 s[4:5], 0
.LBB1_169:                              ;   in Loop: Header=BB1_82 Depth=1
	s_andn2_b64 vcc, exec, s[4:5]
	s_cbranch_vccnz .LBB1_171
; %bb.170:                              ;   in Loop: Header=BB1_82 Depth=1
	s_add_u32 s8, s36, 0x1000
	s_addc_u32 s9, s37, 0
	s_getpc_b64 s[16:17]
	s_add_u32 s16, s16, _Z50ncclDevFunc_AllReduce_RING_SIMPLE_MinMax_u64_0_0_2v@rel32@lo+4
	s_addc_u32 s17, s17, _Z50ncclDevFunc_AllReduce_RING_SIMPLE_MinMax_u64_0_0_2v@rel32@hi+12
	s_mov_b64 s[4:5], s[48:49]
	s_mov_b64 s[6:7], s[38:39]
	s_mov_b64 s[10:11], s[34:35]
	s_mov_b32 s12, s55
	s_mov_b32 s13, s54
	s_mov_b32 s14, s33
	v_mov_b32_e32 v31, v40
	s_swappc_b64 s[30:31], s[16:17]
.LBB1_171:                              ;   in Loop: Header=BB1_82 Depth=1
	s_mov_b64 s[4:5], 0
.LBB1_172:                              ;   in Loop: Header=BB1_82 Depth=1
	s_andn2_b64 vcc, exec, s[4:5]
	s_cbranch_vccnz .LBB1_256
; %bb.173:                              ;   in Loop: Header=BB1_82 Depth=1
	s_cmpk_gt_u32 s71, 0x6e
	s_mov_b64 s[4:5], -1
	s_cbranch_scc0 .LBB1_215
; %bb.174:                              ;   in Loop: Header=BB1_82 Depth=1
	s_cmpk_gt_u32 s71, 0x79
	s_cbranch_scc0 .LBB1_194
; %bb.175:                              ;   in Loop: Header=BB1_82 Depth=1
	s_cmpk_gt_u32 s71, 0x7f
	;; [unrolled: 3-line block ×3, first 2 shown]
	s_cbranch_scc0 .LBB1_182
; %bb.177:                              ;   in Loop: Header=BB1_82 Depth=1
	s_cmpk_lg_i32 s71, 0x83
	s_cbranch_scc0 .LBB1_179
; %bb.178:                              ;   in Loop: Header=BB1_82 Depth=1
	s_add_u32 s8, s36, 0x1000
	s_addc_u32 s9, s37, 0
	s_getpc_b64 s[16:17]
	s_add_u32 s16, s16, _Z50ncclDevFunc_AllReduce_RING_SIMPLE_MinMax_u32_0_0_2v@rel32@lo+4
	s_addc_u32 s17, s17, _Z50ncclDevFunc_AllReduce_RING_SIMPLE_MinMax_u32_0_0_2v@rel32@hi+12
	s_mov_b64 s[4:5], s[48:49]
	s_mov_b64 s[6:7], s[38:39]
	;; [unrolled: 1-line block ×3, first 2 shown]
	s_mov_b32 s12, s55
	s_mov_b32 s13, s54
	;; [unrolled: 1-line block ×3, first 2 shown]
	v_mov_b32_e32 v31, v40
	s_swappc_b64 s[30:31], s[16:17]
	s_mov_b64 s[4:5], 0
.LBB1_179:                              ;   in Loop: Header=BB1_82 Depth=1
	s_andn2_b64 vcc, exec, s[4:5]
	s_cbranch_vccnz .LBB1_181
; %bb.180:                              ;   in Loop: Header=BB1_82 Depth=1
	s_add_u32 s8, s36, 0x1000
	s_addc_u32 s9, s37, 0
	s_getpc_b64 s[16:17]
	s_add_u32 s16, s16, _Z49ncclDevFunc_AllReduce_RING_SIMPLE_MinMax_u8_0_0_2v@rel32@lo+4
	s_addc_u32 s17, s17, _Z49ncclDevFunc_AllReduce_RING_SIMPLE_MinMax_u8_0_0_2v@rel32@hi+12
	s_mov_b64 s[4:5], s[48:49]
	s_mov_b64 s[6:7], s[38:39]
	;; [unrolled: 1-line block ×3, first 2 shown]
	s_mov_b32 s12, s55
	s_mov_b32 s13, s54
	;; [unrolled: 1-line block ×3, first 2 shown]
	v_mov_b32_e32 v31, v40
	s_swappc_b64 s[30:31], s[16:17]
.LBB1_181:                              ;   in Loop: Header=BB1_82 Depth=1
	s_mov_b64 s[4:5], 0
.LBB1_182:                              ;   in Loop: Header=BB1_82 Depth=1
	s_andn2_b64 vcc, exec, s[4:5]
	s_cbranch_vccnz .LBB1_184
; %bb.183:                              ;   in Loop: Header=BB1_82 Depth=1
	s_add_u32 s8, s36, 0x1000
	s_addc_u32 s9, s37, 0
	s_getpc_b64 s[16:17]
	s_add_u32 s16, s16, _Z51ncclDevFunc_AllReduce_RING_SIMPLE_Prod_f8e5m2_0_0_2v@rel32@lo+4
	s_addc_u32 s17, s17, _Z51ncclDevFunc_AllReduce_RING_SIMPLE_Prod_f8e5m2_0_0_2v@rel32@hi+12
	s_mov_b64 s[4:5], s[48:49]
	s_mov_b64 s[6:7], s[38:39]
	;; [unrolled: 1-line block ×3, first 2 shown]
	s_mov_b32 s12, s55
	s_mov_b32 s13, s54
	;; [unrolled: 1-line block ×3, first 2 shown]
	v_mov_b32_e32 v31, v40
	s_swappc_b64 s[30:31], s[16:17]
.LBB1_184:                              ;   in Loop: Header=BB1_82 Depth=1
	s_mov_b64 s[4:5], 0
.LBB1_185:                              ;   in Loop: Header=BB1_82 Depth=1
	s_andn2_b64 vcc, exec, s[4:5]
	s_cbranch_vccnz .LBB1_193
; %bb.186:                              ;   in Loop: Header=BB1_82 Depth=1
	s_cmpk_gt_u32 s71, 0x7c
	s_mov_b64 s[4:5], -1
	s_cbranch_scc0 .LBB1_188
; %bb.187:                              ;   in Loop: Header=BB1_82 Depth=1
	s_add_u32 s8, s36, 0x1000
	s_addc_u32 s9, s37, 0
	s_getpc_b64 s[16:17]
	s_add_u32 s16, s16, _Z51ncclDevFunc_AllReduce_RING_SIMPLE_Prod_f8e4m3_0_0_2v@rel32@lo+4
	s_addc_u32 s17, s17, _Z51ncclDevFunc_AllReduce_RING_SIMPLE_Prod_f8e4m3_0_0_2v@rel32@hi+12
	s_mov_b64 s[4:5], s[48:49]
	s_mov_b64 s[6:7], s[38:39]
	;; [unrolled: 1-line block ×3, first 2 shown]
	s_mov_b32 s12, s55
	s_mov_b32 s13, s54
	s_mov_b32 s14, s33
	v_mov_b32_e32 v31, v40
	s_swappc_b64 s[30:31], s[16:17]
	s_mov_b64 s[4:5], 0
.LBB1_188:                              ;   in Loop: Header=BB1_82 Depth=1
	s_andn2_b64 vcc, exec, s[4:5]
	s_cbranch_vccnz .LBB1_193
; %bb.189:                              ;   in Loop: Header=BB1_82 Depth=1
	s_cmpk_eq_i32 s71, 0x7c
	s_mov_b64 s[4:5], -1
	s_cbranch_scc1 .LBB1_191
; %bb.190:                              ;   in Loop: Header=BB1_82 Depth=1
	s_add_u32 s8, s36, 0x1000
	s_addc_u32 s9, s37, 0
	s_getpc_b64 s[16:17]
	s_add_u32 s16, s16, _Z49ncclDevFunc_AllReduce_RING_SIMPLE_Prod_bf16_0_0_2v@rel32@lo+4
	s_addc_u32 s17, s17, _Z49ncclDevFunc_AllReduce_RING_SIMPLE_Prod_bf16_0_0_2v@rel32@hi+12
	s_mov_b64 s[4:5], s[48:49]
	s_mov_b64 s[6:7], s[38:39]
	s_mov_b64 s[10:11], s[34:35]
	s_mov_b32 s12, s55
	s_mov_b32 s13, s54
	;; [unrolled: 1-line block ×3, first 2 shown]
	v_mov_b32_e32 v31, v40
	s_swappc_b64 s[30:31], s[16:17]
	s_mov_b64 s[4:5], 0
.LBB1_191:                              ;   in Loop: Header=BB1_82 Depth=1
	s_andn2_b64 vcc, exec, s[4:5]
	s_cbranch_vccnz .LBB1_193
; %bb.192:                              ;   in Loop: Header=BB1_82 Depth=1
	s_add_u32 s8, s36, 0x1000
	s_addc_u32 s9, s37, 0
	s_getpc_b64 s[16:17]
	s_add_u32 s16, s16, _Z49ncclDevFunc_AllReduce_RING_SIMPLE_Prod_bf16_0_1_2v@rel32@lo+4
	s_addc_u32 s17, s17, _Z49ncclDevFunc_AllReduce_RING_SIMPLE_Prod_bf16_0_1_2v@rel32@hi+12
	s_mov_b64 s[4:5], s[48:49]
	s_mov_b64 s[6:7], s[38:39]
	;; [unrolled: 1-line block ×3, first 2 shown]
	s_mov_b32 s12, s55
	s_mov_b32 s13, s54
	;; [unrolled: 1-line block ×3, first 2 shown]
	v_mov_b32_e32 v31, v40
	s_swappc_b64 s[30:31], s[16:17]
.LBB1_193:                              ;   in Loop: Header=BB1_82 Depth=1
	s_mov_b64 s[4:5], 0
.LBB1_194:                              ;   in Loop: Header=BB1_82 Depth=1
	s_andn2_b64 vcc, exec, s[4:5]
	s_cbranch_vccnz .LBB1_214
; %bb.195:                              ;   in Loop: Header=BB1_82 Depth=1
	s_cmpk_gt_u32 s71, 0x73
	s_mov_b64 s[4:5], -1
	s_cbranch_scc0 .LBB1_205
; %bb.196:                              ;   in Loop: Header=BB1_82 Depth=1
	s_cmpk_gt_u32 s71, 0x76
	s_cbranch_scc0 .LBB1_202
; %bb.197:                              ;   in Loop: Header=BB1_82 Depth=1
	s_cmpk_lg_i32 s71, 0x77
	s_cbranch_scc0 .LBB1_199
; %bb.198:                              ;   in Loop: Header=BB1_82 Depth=1
	s_add_u32 s8, s36, 0x1000
	s_addc_u32 s9, s37, 0
	s_getpc_b64 s[16:17]
	s_add_u32 s16, s16, _Z48ncclDevFunc_AllReduce_RING_SIMPLE_Prod_f64_0_0_2v@rel32@lo+4
	s_addc_u32 s17, s17, _Z48ncclDevFunc_AllReduce_RING_SIMPLE_Prod_f64_0_0_2v@rel32@hi+12
	s_mov_b64 s[4:5], s[48:49]
	s_mov_b64 s[6:7], s[38:39]
	s_mov_b64 s[10:11], s[34:35]
	s_mov_b32 s12, s55
	s_mov_b32 s13, s54
	;; [unrolled: 1-line block ×3, first 2 shown]
	v_mov_b32_e32 v31, v40
	s_swappc_b64 s[30:31], s[16:17]
	s_mov_b64 s[4:5], 0
.LBB1_199:                              ;   in Loop: Header=BB1_82 Depth=1
	s_andn2_b64 vcc, exec, s[4:5]
	s_cbranch_vccnz .LBB1_201
; %bb.200:                              ;   in Loop: Header=BB1_82 Depth=1
	s_add_u32 s8, s36, 0x1000
	s_addc_u32 s9, s37, 0
	s_getpc_b64 s[16:17]
	s_add_u32 s16, s16, _Z48ncclDevFunc_AllReduce_RING_SIMPLE_Prod_f32_0_0_2v@rel32@lo+4
	s_addc_u32 s17, s17, _Z48ncclDevFunc_AllReduce_RING_SIMPLE_Prod_f32_0_0_2v@rel32@hi+12
	s_mov_b64 s[4:5], s[48:49]
	s_mov_b64 s[6:7], s[38:39]
	;; [unrolled: 1-line block ×3, first 2 shown]
	s_mov_b32 s12, s55
	s_mov_b32 s13, s54
	;; [unrolled: 1-line block ×3, first 2 shown]
	v_mov_b32_e32 v31, v40
	s_swappc_b64 s[30:31], s[16:17]
.LBB1_201:                              ;   in Loop: Header=BB1_82 Depth=1
	s_mov_b64 s[4:5], 0
.LBB1_202:                              ;   in Loop: Header=BB1_82 Depth=1
	s_andn2_b64 vcc, exec, s[4:5]
	s_cbranch_vccnz .LBB1_204
; %bb.203:                              ;   in Loop: Header=BB1_82 Depth=1
	s_add_u32 s8, s36, 0x1000
	s_addc_u32 s9, s37, 0
	s_getpc_b64 s[16:17]
	s_add_u32 s16, s16, _Z48ncclDevFunc_AllReduce_RING_SIMPLE_Prod_f16_0_0_2v@rel32@lo+4
	s_addc_u32 s17, s17, _Z48ncclDevFunc_AllReduce_RING_SIMPLE_Prod_f16_0_0_2v@rel32@hi+12
	s_mov_b64 s[4:5], s[48:49]
	s_mov_b64 s[6:7], s[38:39]
	;; [unrolled: 1-line block ×3, first 2 shown]
	s_mov_b32 s12, s55
	s_mov_b32 s13, s54
	;; [unrolled: 1-line block ×3, first 2 shown]
	v_mov_b32_e32 v31, v40
	s_swappc_b64 s[30:31], s[16:17]
.LBB1_204:                              ;   in Loop: Header=BB1_82 Depth=1
	s_mov_b64 s[4:5], 0
.LBB1_205:                              ;   in Loop: Header=BB1_82 Depth=1
	s_andn2_b64 vcc, exec, s[4:5]
	s_cbranch_vccnz .LBB1_214
; %bb.206:                              ;   in Loop: Header=BB1_82 Depth=1
	s_cmpk_gt_u32 s71, 0x70
	s_mov_b64 s[4:5], -1
	s_cbranch_scc0 .LBB1_212
; %bb.207:                              ;   in Loop: Header=BB1_82 Depth=1
	s_cmpk_lg_i32 s71, 0x71
	s_cbranch_scc0 .LBB1_209
; %bb.208:                              ;   in Loop: Header=BB1_82 Depth=1
	s_add_u32 s8, s36, 0x1000
	s_addc_u32 s9, s37, 0
	s_getpc_b64 s[16:17]
	s_add_u32 s16, s16, _Z48ncclDevFunc_AllReduce_RING_SIMPLE_Prod_u64_0_0_2v@rel32@lo+4
	s_addc_u32 s17, s17, _Z48ncclDevFunc_AllReduce_RING_SIMPLE_Prod_u64_0_0_2v@rel32@hi+12
	s_mov_b64 s[4:5], s[48:49]
	s_mov_b64 s[6:7], s[38:39]
	;; [unrolled: 1-line block ×3, first 2 shown]
	s_mov_b32 s12, s55
	s_mov_b32 s13, s54
	;; [unrolled: 1-line block ×3, first 2 shown]
	v_mov_b32_e32 v31, v40
	s_swappc_b64 s[30:31], s[16:17]
	s_mov_b64 s[4:5], 0
.LBB1_209:                              ;   in Loop: Header=BB1_82 Depth=1
	s_andn2_b64 vcc, exec, s[4:5]
	s_cbranch_vccnz .LBB1_211
; %bb.210:                              ;   in Loop: Header=BB1_82 Depth=1
	s_add_u32 s8, s36, 0x1000
	s_addc_u32 s9, s37, 0
	s_getpc_b64 s[16:17]
	s_add_u32 s16, s16, _Z48ncclDevFunc_AllReduce_RING_SIMPLE_Prod_u32_0_0_2v@rel32@lo+4
	s_addc_u32 s17, s17, _Z48ncclDevFunc_AllReduce_RING_SIMPLE_Prod_u32_0_0_2v@rel32@hi+12
	s_mov_b64 s[4:5], s[48:49]
	s_mov_b64 s[6:7], s[38:39]
	;; [unrolled: 1-line block ×3, first 2 shown]
	s_mov_b32 s12, s55
	s_mov_b32 s13, s54
	;; [unrolled: 1-line block ×3, first 2 shown]
	v_mov_b32_e32 v31, v40
	s_swappc_b64 s[30:31], s[16:17]
.LBB1_211:                              ;   in Loop: Header=BB1_82 Depth=1
	s_mov_b64 s[4:5], 0
.LBB1_212:                              ;   in Loop: Header=BB1_82 Depth=1
	s_andn2_b64 vcc, exec, s[4:5]
	s_cbranch_vccnz .LBB1_214
; %bb.213:                              ;   in Loop: Header=BB1_82 Depth=1
	s_add_u32 s8, s36, 0x1000
	s_addc_u32 s9, s37, 0
	s_getpc_b64 s[16:17]
	s_add_u32 s16, s16, _Z47ncclDevFunc_AllReduce_RING_SIMPLE_Prod_u8_0_0_2v@rel32@lo+4
	s_addc_u32 s17, s17, _Z47ncclDevFunc_AllReduce_RING_SIMPLE_Prod_u8_0_0_2v@rel32@hi+12
	s_mov_b64 s[4:5], s[48:49]
	s_mov_b64 s[6:7], s[38:39]
	;; [unrolled: 1-line block ×3, first 2 shown]
	s_mov_b32 s12, s55
	s_mov_b32 s13, s54
	;; [unrolled: 1-line block ×3, first 2 shown]
	v_mov_b32_e32 v31, v40
	s_swappc_b64 s[30:31], s[16:17]
.LBB1_214:                              ;   in Loop: Header=BB1_82 Depth=1
	s_mov_b64 s[4:5], 0
.LBB1_215:                              ;   in Loop: Header=BB1_82 Depth=1
	s_andn2_b64 vcc, exec, s[4:5]
	s_cbranch_vccnz .LBB1_256
; %bb.216:                              ;   in Loop: Header=BB1_82 Depth=1
	s_cmpk_gt_u32 s71, 0x63
	s_mov_b64 s[4:5], -1
	s_cbranch_scc0 .LBB1_233
; %bb.217:                              ;   in Loop: Header=BB1_82 Depth=1
	s_cmpk_gt_u32 s71, 0x68
	s_cbranch_scc0 .LBB1_223
; %bb.218:                              ;   in Loop: Header=BB1_82 Depth=1
	s_cmpk_gt_u32 s71, 0x6b
	s_cbranch_scc0 .LBB1_220
; %bb.219:                              ;   in Loop: Header=BB1_82 Depth=1
	s_add_u32 s8, s36, 0x1000
	s_addc_u32 s9, s37, 0
	s_getpc_b64 s[16:17]
	s_add_u32 s16, s16, _Z50ncclDevFunc_AllReduce_RING_SIMPLE_Sum_f8e5m2_0_0_2v@rel32@lo+4
	s_addc_u32 s17, s17, _Z50ncclDevFunc_AllReduce_RING_SIMPLE_Sum_f8e5m2_0_0_2v@rel32@hi+12
	s_mov_b64 s[4:5], s[48:49]
	s_mov_b64 s[6:7], s[38:39]
	s_mov_b64 s[10:11], s[34:35]
	s_mov_b32 s12, s55
	s_mov_b32 s13, s54
	;; [unrolled: 1-line block ×3, first 2 shown]
	v_mov_b32_e32 v31, v40
	s_swappc_b64 s[30:31], s[16:17]
	s_mov_b64 s[4:5], 0
.LBB1_220:                              ;   in Loop: Header=BB1_82 Depth=1
	s_andn2_b64 vcc, exec, s[4:5]
	s_cbranch_vccnz .LBB1_222
; %bb.221:                              ;   in Loop: Header=BB1_82 Depth=1
	s_add_u32 s8, s36, 0x1000
	s_addc_u32 s9, s37, 0
	s_getpc_b64 s[16:17]
	s_add_u32 s16, s16, _Z50ncclDevFunc_AllReduce_RING_SIMPLE_Sum_f8e4m3_0_0_2v@rel32@lo+4
	s_addc_u32 s17, s17, _Z50ncclDevFunc_AllReduce_RING_SIMPLE_Sum_f8e4m3_0_0_2v@rel32@hi+12
	s_mov_b64 s[4:5], s[48:49]
	s_mov_b64 s[6:7], s[38:39]
	;; [unrolled: 1-line block ×3, first 2 shown]
	s_mov_b32 s12, s55
	s_mov_b32 s13, s54
	;; [unrolled: 1-line block ×3, first 2 shown]
	v_mov_b32_e32 v31, v40
	s_swappc_b64 s[30:31], s[16:17]
.LBB1_222:                              ;   in Loop: Header=BB1_82 Depth=1
	s_mov_b64 s[4:5], 0
.LBB1_223:                              ;   in Loop: Header=BB1_82 Depth=1
	s_andn2_b64 vcc, exec, s[4:5]
	s_cbranch_vccnz .LBB1_232
; %bb.224:                              ;   in Loop: Header=BB1_82 Depth=1
	s_cmpk_gt_u32 s71, 0x65
	s_mov_b64 s[4:5], -1
	s_cbranch_scc0 .LBB1_230
; %bb.225:                              ;   in Loop: Header=BB1_82 Depth=1
	s_cmpk_eq_i32 s71, 0x68
	s_cbranch_scc1 .LBB1_227
; %bb.226:                              ;   in Loop: Header=BB1_82 Depth=1
	s_add_u32 s8, s36, 0x1000
	s_addc_u32 s9, s37, 0
	s_getpc_b64 s[16:17]
	s_add_u32 s16, s16, _Z48ncclDevFunc_AllReduce_RING_SIMPLE_Sum_bf16_0_0_2v@rel32@lo+4
	s_addc_u32 s17, s17, _Z48ncclDevFunc_AllReduce_RING_SIMPLE_Sum_bf16_0_0_2v@rel32@hi+12
	s_mov_b64 s[4:5], s[48:49]
	s_mov_b64 s[6:7], s[38:39]
	;; [unrolled: 1-line block ×3, first 2 shown]
	s_mov_b32 s12, s55
	s_mov_b32 s13, s54
	;; [unrolled: 1-line block ×3, first 2 shown]
	v_mov_b32_e32 v31, v40
	s_swappc_b64 s[30:31], s[16:17]
	s_mov_b64 s[4:5], 0
.LBB1_227:                              ;   in Loop: Header=BB1_82 Depth=1
	s_andn2_b64 vcc, exec, s[4:5]
	s_cbranch_vccnz .LBB1_229
; %bb.228:                              ;   in Loop: Header=BB1_82 Depth=1
	s_add_u32 s8, s36, 0x1000
	s_addc_u32 s9, s37, 0
	s_getpc_b64 s[16:17]
	s_add_u32 s16, s16, _Z48ncclDevFunc_AllReduce_RING_SIMPLE_Sum_bf16_0_1_2v@rel32@lo+4
	s_addc_u32 s17, s17, _Z48ncclDevFunc_AllReduce_RING_SIMPLE_Sum_bf16_0_1_2v@rel32@hi+12
	s_mov_b64 s[4:5], s[48:49]
	s_mov_b64 s[6:7], s[38:39]
	;; [unrolled: 1-line block ×3, first 2 shown]
	s_mov_b32 s12, s55
	s_mov_b32 s13, s54
	;; [unrolled: 1-line block ×3, first 2 shown]
	v_mov_b32_e32 v31, v40
	s_swappc_b64 s[30:31], s[16:17]
.LBB1_229:                              ;   in Loop: Header=BB1_82 Depth=1
	s_mov_b64 s[4:5], 0
.LBB1_230:                              ;   in Loop: Header=BB1_82 Depth=1
	s_andn2_b64 vcc, exec, s[4:5]
	s_cbranch_vccnz .LBB1_232
; %bb.231:                              ;   in Loop: Header=BB1_82 Depth=1
	s_add_u32 s8, s36, 0x1000
	s_addc_u32 s9, s37, 0
	s_getpc_b64 s[16:17]
	s_add_u32 s16, s16, _Z47ncclDevFunc_AllReduce_RING_SIMPLE_Sum_f64_0_0_2v@rel32@lo+4
	s_addc_u32 s17, s17, _Z47ncclDevFunc_AllReduce_RING_SIMPLE_Sum_f64_0_0_2v@rel32@hi+12
	s_mov_b64 s[4:5], s[48:49]
	s_mov_b64 s[6:7], s[38:39]
	;; [unrolled: 1-line block ×3, first 2 shown]
	s_mov_b32 s12, s55
	s_mov_b32 s13, s54
	;; [unrolled: 1-line block ×3, first 2 shown]
	v_mov_b32_e32 v31, v40
	s_swappc_b64 s[30:31], s[16:17]
.LBB1_232:                              ;   in Loop: Header=BB1_82 Depth=1
	s_mov_b64 s[4:5], 0
.LBB1_233:                              ;   in Loop: Header=BB1_82 Depth=1
	s_andn2_b64 vcc, exec, s[4:5]
	s_cbranch_vccnz .LBB1_256
; %bb.234:                              ;   in Loop: Header=BB1_82 Depth=1
	s_cmpk_gt_u32 s71, 0x5d
	s_mov_b64 s[4:5], -1
	s_cbranch_scc0 .LBB1_244
; %bb.235:                              ;   in Loop: Header=BB1_82 Depth=1
	s_cmpk_gt_u32 s71, 0x60
	s_cbranch_scc0 .LBB1_241
; %bb.236:                              ;   in Loop: Header=BB1_82 Depth=1
	s_cmpk_lg_i32 s71, 0x61
	s_cbranch_scc0 .LBB1_238
; %bb.237:                              ;   in Loop: Header=BB1_82 Depth=1
	s_add_u32 s8, s36, 0x1000
	s_addc_u32 s9, s37, 0
	s_getpc_b64 s[16:17]
	s_add_u32 s16, s16, _Z47ncclDevFunc_AllReduce_RING_SIMPLE_Sum_f32_0_0_2v@rel32@lo+4
	s_addc_u32 s17, s17, _Z47ncclDevFunc_AllReduce_RING_SIMPLE_Sum_f32_0_0_2v@rel32@hi+12
	s_mov_b64 s[4:5], s[48:49]
	s_mov_b64 s[6:7], s[38:39]
	;; [unrolled: 1-line block ×3, first 2 shown]
	s_mov_b32 s12, s55
	s_mov_b32 s13, s54
	s_mov_b32 s14, s33
	v_mov_b32_e32 v31, v40
	s_swappc_b64 s[30:31], s[16:17]
	s_mov_b64 s[4:5], 0
.LBB1_238:                              ;   in Loop: Header=BB1_82 Depth=1
	s_andn2_b64 vcc, exec, s[4:5]
	s_cbranch_vccnz .LBB1_240
; %bb.239:                              ;   in Loop: Header=BB1_82 Depth=1
	s_add_u32 s8, s36, 0x1000
	s_addc_u32 s9, s37, 0
	s_getpc_b64 s[16:17]
	s_add_u32 s16, s16, _Z47ncclDevFunc_AllReduce_RING_SIMPLE_Sum_f16_0_0_2v@rel32@lo+4
	s_addc_u32 s17, s17, _Z47ncclDevFunc_AllReduce_RING_SIMPLE_Sum_f16_0_0_2v@rel32@hi+12
	s_mov_b64 s[4:5], s[48:49]
	s_mov_b64 s[6:7], s[38:39]
	s_mov_b64 s[10:11], s[34:35]
	s_mov_b32 s12, s55
	s_mov_b32 s13, s54
	s_mov_b32 s14, s33
	v_mov_b32_e32 v31, v40
	s_swappc_b64 s[30:31], s[16:17]
.LBB1_240:                              ;   in Loop: Header=BB1_82 Depth=1
	s_mov_b64 s[4:5], 0
.LBB1_241:                              ;   in Loop: Header=BB1_82 Depth=1
	s_andn2_b64 vcc, exec, s[4:5]
	s_cbranch_vccnz .LBB1_243
; %bb.242:                              ;   in Loop: Header=BB1_82 Depth=1
	s_add_u32 s8, s36, 0x1000
	s_addc_u32 s9, s37, 0
	s_getpc_b64 s[16:17]
	s_add_u32 s16, s16, _Z47ncclDevFunc_AllReduce_RING_SIMPLE_Sum_u64_0_0_2v@rel32@lo+4
	s_addc_u32 s17, s17, _Z47ncclDevFunc_AllReduce_RING_SIMPLE_Sum_u64_0_0_2v@rel32@hi+12
	s_mov_b64 s[4:5], s[48:49]
	s_mov_b64 s[6:7], s[38:39]
	;; [unrolled: 1-line block ×3, first 2 shown]
	s_mov_b32 s12, s55
	s_mov_b32 s13, s54
	;; [unrolled: 1-line block ×3, first 2 shown]
	v_mov_b32_e32 v31, v40
	s_swappc_b64 s[30:31], s[16:17]
.LBB1_243:                              ;   in Loop: Header=BB1_82 Depth=1
	s_mov_b64 s[4:5], 0
.LBB1_244:                              ;   in Loop: Header=BB1_82 Depth=1
	s_andn2_b64 vcc, exec, s[4:5]
	s_cbranch_vccnz .LBB1_256
; %bb.245:                              ;   in Loop: Header=BB1_82 Depth=1
	s_cmpk_gt_u32 s71, 0x5a
	s_mov_b64 s[4:5], -1
	s_cbranch_scc0 .LBB1_251
; %bb.246:                              ;   in Loop: Header=BB1_82 Depth=1
	s_cmpk_lg_i32 s71, 0x5b
	s_cbranch_scc0 .LBB1_248
; %bb.247:                              ;   in Loop: Header=BB1_82 Depth=1
	s_add_u32 s8, s36, 0x1000
	s_addc_u32 s9, s37, 0
	s_getpc_b64 s[16:17]
	s_add_u32 s16, s16, _Z47ncclDevFunc_AllReduce_RING_SIMPLE_Sum_u32_0_0_2v@rel32@lo+4
	s_addc_u32 s17, s17, _Z47ncclDevFunc_AllReduce_RING_SIMPLE_Sum_u32_0_0_2v@rel32@hi+12
	s_mov_b64 s[4:5], s[48:49]
	s_mov_b64 s[6:7], s[38:39]
	;; [unrolled: 1-line block ×3, first 2 shown]
	s_mov_b32 s12, s55
	s_mov_b32 s13, s54
	;; [unrolled: 1-line block ×3, first 2 shown]
	v_mov_b32_e32 v31, v40
	s_swappc_b64 s[30:31], s[16:17]
	s_mov_b64 s[4:5], 0
.LBB1_248:                              ;   in Loop: Header=BB1_82 Depth=1
	s_andn2_b64 vcc, exec, s[4:5]
	s_cbranch_vccnz .LBB1_250
; %bb.249:                              ;   in Loop: Header=BB1_82 Depth=1
	s_add_u32 s8, s36, 0x1000
	s_addc_u32 s9, s37, 0
	s_getpc_b64 s[16:17]
	s_add_u32 s16, s16, _Z46ncclDevFunc_AllReduce_RING_SIMPLE_Sum_u8_0_0_2v@rel32@lo+4
	s_addc_u32 s17, s17, _Z46ncclDevFunc_AllReduce_RING_SIMPLE_Sum_u8_0_0_2v@rel32@hi+12
	s_mov_b64 s[4:5], s[48:49]
	s_mov_b64 s[6:7], s[38:39]
	s_mov_b64 s[10:11], s[34:35]
	s_mov_b32 s12, s55
	s_mov_b32 s13, s54
	;; [unrolled: 1-line block ×3, first 2 shown]
	v_mov_b32_e32 v31, v40
	s_swappc_b64 s[30:31], s[16:17]
.LBB1_250:                              ;   in Loop: Header=BB1_82 Depth=1
	s_mov_b64 s[4:5], 0
.LBB1_251:                              ;   in Loop: Header=BB1_82 Depth=1
	s_andn2_b64 vcc, exec, s[4:5]
	s_cbranch_vccnz .LBB1_256
; %bb.252:                              ;   in Loop: Header=BB1_82 Depth=1
	s_cmpk_eq_i32 s71, 0x5a
	s_mov_b64 s[4:5], -1
	s_cbranch_scc1 .LBB1_254
; %bb.253:                              ;   in Loop: Header=BB1_82 Depth=1
	s_add_u32 s8, s36, 0x1000
	s_addc_u32 s9, s37, 0
	s_getpc_b64 s[16:17]
	s_add_u32 s16, s16, _Z54ncclDevFunc_ReduceScatter_RING_LL_SumPostDiv_u32_0_0_2v@rel32@lo+4
	s_addc_u32 s17, s17, _Z54ncclDevFunc_ReduceScatter_RING_LL_SumPostDiv_u32_0_0_2v@rel32@hi+12
	s_mov_b64 s[4:5], s[48:49]
	s_mov_b64 s[6:7], s[38:39]
	s_mov_b64 s[10:11], s[34:35]
	s_mov_b32 s12, s55
	s_mov_b32 s13, s54
	;; [unrolled: 1-line block ×3, first 2 shown]
	v_mov_b32_e32 v31, v40
	s_swappc_b64 s[30:31], s[16:17]
	s_mov_b64 s[4:5], 0
.LBB1_254:                              ;   in Loop: Header=BB1_82 Depth=1
	s_andn2_b64 vcc, exec, s[4:5]
	s_cbranch_vccnz .LBB1_256
; %bb.255:                              ;   in Loop: Header=BB1_82 Depth=1
	s_add_u32 s8, s36, 0x1000
	s_addc_u32 s9, s37, 0
	s_getpc_b64 s[16:17]
	s_add_u32 s16, s16, _Z54ncclDevFunc_ReduceScatter_RING_LL_SumPostDiv_u64_0_0_2v@rel32@lo+4
	s_addc_u32 s17, s17, _Z54ncclDevFunc_ReduceScatter_RING_LL_SumPostDiv_u64_0_0_2v@rel32@hi+12
	s_mov_b64 s[4:5], s[48:49]
	s_mov_b64 s[6:7], s[38:39]
	s_mov_b64 s[10:11], s[34:35]
	s_mov_b32 s12, s55
	s_mov_b32 s13, s54
	;; [unrolled: 1-line block ×3, first 2 shown]
	v_mov_b32_e32 v31, v40
	s_swappc_b64 s[30:31], s[16:17]
.LBB1_256:                              ;   in Loop: Header=BB1_82 Depth=1
	s_mov_b64 s[4:5], 0
.LBB1_257:                              ;   in Loop: Header=BB1_82 Depth=1
	s_andn2_b64 vcc, exec, s[4:5]
	s_cbranch_vccnz .LBB1_568
; %bb.258:                              ;   in Loop: Header=BB1_82 Depth=1
	s_and_b32 s71, 0xffff, s70
	s_cmp_gt_u32 s71, 43
	s_mov_b64 s[4:5], -1
	s_cbranch_scc0 .LBB1_413
; %bb.259:                              ;   in Loop: Header=BB1_82 Depth=1
	s_cmpk_gt_u32 s71, 0x41
	s_cbranch_scc0 .LBB1_342
; %bb.260:                              ;   in Loop: Header=BB1_82 Depth=1
	s_cmpk_gt_u32 s71, 0x4c
	;; [unrolled: 3-line block ×4, first 2 shown]
	s_cbranch_scc0 .LBB1_272
; %bb.263:                              ;   in Loop: Header=BB1_82 Depth=1
	s_sext_i32_i16 s4, s70
	s_cmpk_lt_i32 s4, 0x57
	s_mov_b64 s[4:5], -1
	s_cbranch_scc1 .LBB1_269
; %bb.264:                              ;   in Loop: Header=BB1_82 Depth=1
	s_cmpk_lg_i32 s71, 0x57
	s_cbranch_scc0 .LBB1_266
; %bb.265:                              ;   in Loop: Header=BB1_82 Depth=1
	s_add_u32 s8, s36, 0x1000
	s_addc_u32 s9, s37, 0
	s_getpc_b64 s[16:17]
	s_add_u32 s16, s16, _Z53ncclDevFunc_ReduceScatter_RING_LL_SumPostDiv_u8_0_0_2v@rel32@lo+4
	s_addc_u32 s17, s17, _Z53ncclDevFunc_ReduceScatter_RING_LL_SumPostDiv_u8_0_0_2v@rel32@hi+12
	s_mov_b64 s[4:5], s[48:49]
	s_mov_b64 s[6:7], s[38:39]
	;; [unrolled: 1-line block ×3, first 2 shown]
	s_mov_b32 s12, s55
	s_mov_b32 s13, s54
	;; [unrolled: 1-line block ×3, first 2 shown]
	v_mov_b32_e32 v31, v40
	s_swappc_b64 s[30:31], s[16:17]
	s_mov_b64 s[4:5], 0
.LBB1_266:                              ;   in Loop: Header=BB1_82 Depth=1
	s_andn2_b64 vcc, exec, s[4:5]
	s_cbranch_vccnz .LBB1_268
; %bb.267:                              ;   in Loop: Header=BB1_82 Depth=1
	s_add_u32 s8, s36, 0x1000
	s_addc_u32 s9, s37, 0
	s_getpc_b64 s[16:17]
	s_add_u32 s16, s16, _Z56ncclDevFunc_ReduceScatter_RING_LL_PreMulSum_f8e5m2_0_0_2v@rel32@lo+4
	s_addc_u32 s17, s17, _Z56ncclDevFunc_ReduceScatter_RING_LL_PreMulSum_f8e5m2_0_0_2v@rel32@hi+12
	s_mov_b64 s[4:5], s[48:49]
	s_mov_b64 s[6:7], s[38:39]
	s_mov_b64 s[10:11], s[34:35]
	s_mov_b32 s12, s55
	s_mov_b32 s13, s54
	;; [unrolled: 1-line block ×3, first 2 shown]
	v_mov_b32_e32 v31, v40
	s_swappc_b64 s[30:31], s[16:17]
.LBB1_268:                              ;   in Loop: Header=BB1_82 Depth=1
	s_mov_b64 s[4:5], 0
.LBB1_269:                              ;   in Loop: Header=BB1_82 Depth=1
	s_andn2_b64 vcc, exec, s[4:5]
	s_cbranch_vccnz .LBB1_271
; %bb.270:                              ;   in Loop: Header=BB1_82 Depth=1
	s_add_u32 s8, s36, 0x1000
	s_addc_u32 s9, s37, 0
	s_getpc_b64 s[16:17]
	s_add_u32 s16, s16, _Z56ncclDevFunc_ReduceScatter_RING_LL_PreMulSum_f8e4m3_0_0_2v@rel32@lo+4
	s_addc_u32 s17, s17, _Z56ncclDevFunc_ReduceScatter_RING_LL_PreMulSum_f8e4m3_0_0_2v@rel32@hi+12
	s_mov_b64 s[4:5], s[48:49]
	s_mov_b64 s[6:7], s[38:39]
	;; [unrolled: 1-line block ×3, first 2 shown]
	s_mov_b32 s12, s55
	s_mov_b32 s13, s54
	;; [unrolled: 1-line block ×3, first 2 shown]
	v_mov_b32_e32 v31, v40
	s_swappc_b64 s[30:31], s[16:17]
.LBB1_271:                              ;   in Loop: Header=BB1_82 Depth=1
	s_mov_b64 s[4:5], 0
.LBB1_272:                              ;   in Loop: Header=BB1_82 Depth=1
	s_and_b64 vcc, exec, s[4:5]
	s_cbranch_vccz .LBB1_281
; %bb.273:                              ;   in Loop: Header=BB1_82 Depth=1
	s_sext_i32_i16 s4, s70
	s_cmpk_lt_i32 s4, 0x54
	s_mov_b64 s[4:5], -1
	s_cbranch_scc1 .LBB1_279
; %bb.274:                              ;   in Loop: Header=BB1_82 Depth=1
	s_cmpk_lg_i32 s71, 0x54
	s_cbranch_scc0 .LBB1_276
; %bb.275:                              ;   in Loop: Header=BB1_82 Depth=1
	s_add_u32 s8, s36, 0x1000
	s_addc_u32 s9, s37, 0
	s_getpc_b64 s[16:17]
	s_add_u32 s16, s16, _Z54ncclDevFunc_ReduceScatter_RING_LL_PreMulSum_bf16_0_0_2v@rel32@lo+4
	s_addc_u32 s17, s17, _Z54ncclDevFunc_ReduceScatter_RING_LL_PreMulSum_bf16_0_0_2v@rel32@hi+12
	s_mov_b64 s[4:5], s[48:49]
	s_mov_b64 s[6:7], s[38:39]
	;; [unrolled: 1-line block ×3, first 2 shown]
	s_mov_b32 s12, s55
	s_mov_b32 s13, s54
	s_mov_b32 s14, s33
	v_mov_b32_e32 v31, v40
	s_swappc_b64 s[30:31], s[16:17]
	s_mov_b64 s[4:5], 0
.LBB1_276:                              ;   in Loop: Header=BB1_82 Depth=1
	s_andn2_b64 vcc, exec, s[4:5]
	s_cbranch_vccnz .LBB1_278
; %bb.277:                              ;   in Loop: Header=BB1_82 Depth=1
	s_add_u32 s8, s36, 0x1000
	s_addc_u32 s9, s37, 0
	s_getpc_b64 s[16:17]
	s_add_u32 s16, s16, _Z53ncclDevFunc_ReduceScatter_RING_LL_PreMulSum_f64_0_0_2v@rel32@lo+4
	s_addc_u32 s17, s17, _Z53ncclDevFunc_ReduceScatter_RING_LL_PreMulSum_f64_0_0_2v@rel32@hi+12
	s_mov_b64 s[4:5], s[48:49]
	s_mov_b64 s[6:7], s[38:39]
	;; [unrolled: 1-line block ×3, first 2 shown]
	s_mov_b32 s12, s55
	s_mov_b32 s13, s54
	;; [unrolled: 1-line block ×3, first 2 shown]
	v_mov_b32_e32 v31, v40
	s_swappc_b64 s[30:31], s[16:17]
.LBB1_278:                              ;   in Loop: Header=BB1_82 Depth=1
	s_mov_b64 s[4:5], 0
.LBB1_279:                              ;   in Loop: Header=BB1_82 Depth=1
	s_andn2_b64 vcc, exec, s[4:5]
	s_cbranch_vccnz .LBB1_281
; %bb.280:                              ;   in Loop: Header=BB1_82 Depth=1
	s_add_u32 s8, s36, 0x1000
	s_addc_u32 s9, s37, 0
	s_getpc_b64 s[16:17]
	s_add_u32 s16, s16, _Z53ncclDevFunc_ReduceScatter_RING_LL_PreMulSum_f32_0_0_2v@rel32@lo+4
	s_addc_u32 s17, s17, _Z53ncclDevFunc_ReduceScatter_RING_LL_PreMulSum_f32_0_0_2v@rel32@hi+12
	s_mov_b64 s[4:5], s[48:49]
	s_mov_b64 s[6:7], s[38:39]
	;; [unrolled: 1-line block ×3, first 2 shown]
	s_mov_b32 s12, s55
	s_mov_b32 s13, s54
	;; [unrolled: 1-line block ×3, first 2 shown]
	v_mov_b32_e32 v31, v40
	s_swappc_b64 s[30:31], s[16:17]
.LBB1_281:                              ;   in Loop: Header=BB1_82 Depth=1
	s_mov_b64 s[4:5], 0
.LBB1_282:                              ;   in Loop: Header=BB1_82 Depth=1
	s_andn2_b64 vcc, exec, s[4:5]
	s_cbranch_vccnz .LBB1_302
; %bb.283:                              ;   in Loop: Header=BB1_82 Depth=1
	s_cmpk_gt_u32 s71, 0x4f
	s_mov_b64 s[4:5], -1
	s_cbranch_scc0 .LBB1_293
; %bb.284:                              ;   in Loop: Header=BB1_82 Depth=1
	s_sext_i32_i16 s4, s70
	s_cmpk_lt_i32 s4, 0x51
	s_mov_b64 s[4:5], -1
	s_cbranch_scc1 .LBB1_290
; %bb.285:                              ;   in Loop: Header=BB1_82 Depth=1
	s_cmpk_lg_i32 s71, 0x51
	s_cbranch_scc0 .LBB1_287
; %bb.286:                              ;   in Loop: Header=BB1_82 Depth=1
	s_add_u32 s8, s36, 0x1000
	s_addc_u32 s9, s37, 0
	s_getpc_b64 s[16:17]
	s_add_u32 s16, s16, _Z53ncclDevFunc_ReduceScatter_RING_LL_PreMulSum_f16_0_0_2v@rel32@lo+4
	s_addc_u32 s17, s17, _Z53ncclDevFunc_ReduceScatter_RING_LL_PreMulSum_f16_0_0_2v@rel32@hi+12
	s_mov_b64 s[4:5], s[48:49]
	s_mov_b64 s[6:7], s[38:39]
	s_mov_b64 s[10:11], s[34:35]
	s_mov_b32 s12, s55
	s_mov_b32 s13, s54
	;; [unrolled: 1-line block ×3, first 2 shown]
	v_mov_b32_e32 v31, v40
	s_swappc_b64 s[30:31], s[16:17]
	s_mov_b64 s[4:5], 0
.LBB1_287:                              ;   in Loop: Header=BB1_82 Depth=1
	s_andn2_b64 vcc, exec, s[4:5]
	s_cbranch_vccnz .LBB1_289
; %bb.288:                              ;   in Loop: Header=BB1_82 Depth=1
	s_add_u32 s8, s36, 0x1000
	s_addc_u32 s9, s37, 0
	s_getpc_b64 s[16:17]
	s_add_u32 s16, s16, _Z53ncclDevFunc_ReduceScatter_RING_LL_PreMulSum_u64_0_0_2v@rel32@lo+4
	s_addc_u32 s17, s17, _Z53ncclDevFunc_ReduceScatter_RING_LL_PreMulSum_u64_0_0_2v@rel32@hi+12
	s_mov_b64 s[4:5], s[48:49]
	s_mov_b64 s[6:7], s[38:39]
	;; [unrolled: 1-line block ×3, first 2 shown]
	s_mov_b32 s12, s55
	s_mov_b32 s13, s54
	;; [unrolled: 1-line block ×3, first 2 shown]
	v_mov_b32_e32 v31, v40
	s_swappc_b64 s[30:31], s[16:17]
.LBB1_289:                              ;   in Loop: Header=BB1_82 Depth=1
	s_mov_b64 s[4:5], 0
.LBB1_290:                              ;   in Loop: Header=BB1_82 Depth=1
	s_andn2_b64 vcc, exec, s[4:5]
	s_cbranch_vccnz .LBB1_292
; %bb.291:                              ;   in Loop: Header=BB1_82 Depth=1
	s_add_u32 s8, s36, 0x1000
	s_addc_u32 s9, s37, 0
	s_getpc_b64 s[16:17]
	s_add_u32 s16, s16, _Z53ncclDevFunc_ReduceScatter_RING_LL_PreMulSum_u32_0_0_2v@rel32@lo+4
	s_addc_u32 s17, s17, _Z53ncclDevFunc_ReduceScatter_RING_LL_PreMulSum_u32_0_0_2v@rel32@hi+12
	s_mov_b64 s[4:5], s[48:49]
	s_mov_b64 s[6:7], s[38:39]
	s_mov_b64 s[10:11], s[34:35]
	s_mov_b32 s12, s55
	s_mov_b32 s13, s54
	;; [unrolled: 1-line block ×3, first 2 shown]
	v_mov_b32_e32 v31, v40
	s_swappc_b64 s[30:31], s[16:17]
.LBB1_292:                              ;   in Loop: Header=BB1_82 Depth=1
	s_mov_b64 s[4:5], 0
.LBB1_293:                              ;   in Loop: Header=BB1_82 Depth=1
	s_and_b64 vcc, exec, s[4:5]
	s_cbranch_vccz .LBB1_302
; %bb.294:                              ;   in Loop: Header=BB1_82 Depth=1
	s_sext_i32_i16 s4, s70
	s_cmpk_lt_i32 s4, 0x4e
	s_mov_b64 s[4:5], -1
	s_cbranch_scc1 .LBB1_300
; %bb.295:                              ;   in Loop: Header=BB1_82 Depth=1
	s_cmpk_lg_i32 s71, 0x4e
	s_cbranch_scc0 .LBB1_297
; %bb.296:                              ;   in Loop: Header=BB1_82 Depth=1
	s_add_u32 s8, s36, 0x1000
	s_addc_u32 s9, s37, 0
	s_getpc_b64 s[16:17]
	s_add_u32 s16, s16, _Z52ncclDevFunc_ReduceScatter_RING_LL_PreMulSum_u8_0_0_2v@rel32@lo+4
	s_addc_u32 s17, s17, _Z52ncclDevFunc_ReduceScatter_RING_LL_PreMulSum_u8_0_0_2v@rel32@hi+12
	s_mov_b64 s[4:5], s[48:49]
	s_mov_b64 s[6:7], s[38:39]
	;; [unrolled: 1-line block ×3, first 2 shown]
	s_mov_b32 s12, s55
	s_mov_b32 s13, s54
	;; [unrolled: 1-line block ×3, first 2 shown]
	v_mov_b32_e32 v31, v40
	s_swappc_b64 s[30:31], s[16:17]
	s_mov_b64 s[4:5], 0
.LBB1_297:                              ;   in Loop: Header=BB1_82 Depth=1
	s_andn2_b64 vcc, exec, s[4:5]
	s_cbranch_vccnz .LBB1_299
; %bb.298:                              ;   in Loop: Header=BB1_82 Depth=1
	s_add_u32 s8, s36, 0x1000
	s_addc_u32 s9, s37, 0
	s_getpc_b64 s[16:17]
	s_add_u32 s16, s16, _Z53ncclDevFunc_ReduceScatter_RING_LL_MinMax_f8e5m2_0_0_2v@rel32@lo+4
	s_addc_u32 s17, s17, _Z53ncclDevFunc_ReduceScatter_RING_LL_MinMax_f8e5m2_0_0_2v@rel32@hi+12
	s_mov_b64 s[4:5], s[48:49]
	s_mov_b64 s[6:7], s[38:39]
	;; [unrolled: 1-line block ×3, first 2 shown]
	s_mov_b32 s12, s55
	s_mov_b32 s13, s54
	;; [unrolled: 1-line block ×3, first 2 shown]
	v_mov_b32_e32 v31, v40
	s_swappc_b64 s[30:31], s[16:17]
.LBB1_299:                              ;   in Loop: Header=BB1_82 Depth=1
	s_mov_b64 s[4:5], 0
.LBB1_300:                              ;   in Loop: Header=BB1_82 Depth=1
	s_andn2_b64 vcc, exec, s[4:5]
	s_cbranch_vccnz .LBB1_302
; %bb.301:                              ;   in Loop: Header=BB1_82 Depth=1
	s_add_u32 s8, s36, 0x1000
	s_addc_u32 s9, s37, 0
	s_getpc_b64 s[16:17]
	s_add_u32 s16, s16, _Z53ncclDevFunc_ReduceScatter_RING_LL_MinMax_f8e4m3_0_0_2v@rel32@lo+4
	s_addc_u32 s17, s17, _Z53ncclDevFunc_ReduceScatter_RING_LL_MinMax_f8e4m3_0_0_2v@rel32@hi+12
	s_mov_b64 s[4:5], s[48:49]
	s_mov_b64 s[6:7], s[38:39]
	;; [unrolled: 1-line block ×3, first 2 shown]
	s_mov_b32 s12, s55
	s_mov_b32 s13, s54
	;; [unrolled: 1-line block ×3, first 2 shown]
	v_mov_b32_e32 v31, v40
	s_swappc_b64 s[30:31], s[16:17]
.LBB1_302:                              ;   in Loop: Header=BB1_82 Depth=1
	s_mov_b64 s[4:5], 0
.LBB1_303:                              ;   in Loop: Header=BB1_82 Depth=1
	s_andn2_b64 vcc, exec, s[4:5]
	s_cbranch_vccnz .LBB1_341
; %bb.304:                              ;   in Loop: Header=BB1_82 Depth=1
	s_cmpk_gt_u32 s71, 0x46
	s_mov_b64 s[4:5], -1
	s_cbranch_scc0 .LBB1_325
; %bb.305:                              ;   in Loop: Header=BB1_82 Depth=1
	s_cmpk_gt_u32 s71, 0x49
	s_cbranch_scc0 .LBB1_315
; %bb.306:                              ;   in Loop: Header=BB1_82 Depth=1
	s_sext_i32_i16 s4, s70
	s_cmpk_lt_i32 s4, 0x4b
	s_mov_b64 s[4:5], -1
	s_cbranch_scc1 .LBB1_312
; %bb.307:                              ;   in Loop: Header=BB1_82 Depth=1
	s_cmpk_lg_i32 s71, 0x4b
	s_cbranch_scc0 .LBB1_309
; %bb.308:                              ;   in Loop: Header=BB1_82 Depth=1
	s_add_u32 s8, s36, 0x1000
	s_addc_u32 s9, s37, 0
	s_getpc_b64 s[16:17]
	s_add_u32 s16, s16, _Z51ncclDevFunc_ReduceScatter_RING_LL_MinMax_bf16_0_0_2v@rel32@lo+4
	s_addc_u32 s17, s17, _Z51ncclDevFunc_ReduceScatter_RING_LL_MinMax_bf16_0_0_2v@rel32@hi+12
	s_mov_b64 s[4:5], s[48:49]
	s_mov_b64 s[6:7], s[38:39]
	;; [unrolled: 1-line block ×3, first 2 shown]
	s_mov_b32 s12, s55
	s_mov_b32 s13, s54
	;; [unrolled: 1-line block ×3, first 2 shown]
	v_mov_b32_e32 v31, v40
	s_swappc_b64 s[30:31], s[16:17]
	s_mov_b64 s[4:5], 0
.LBB1_309:                              ;   in Loop: Header=BB1_82 Depth=1
	s_andn2_b64 vcc, exec, s[4:5]
	s_cbranch_vccnz .LBB1_311
; %bb.310:                              ;   in Loop: Header=BB1_82 Depth=1
	s_add_u32 s8, s36, 0x1000
	s_addc_u32 s9, s37, 0
	s_getpc_b64 s[16:17]
	s_add_u32 s16, s16, _Z50ncclDevFunc_ReduceScatter_RING_LL_MinMax_f64_0_0_2v@rel32@lo+4
	s_addc_u32 s17, s17, _Z50ncclDevFunc_ReduceScatter_RING_LL_MinMax_f64_0_0_2v@rel32@hi+12
	s_mov_b64 s[4:5], s[48:49]
	s_mov_b64 s[6:7], s[38:39]
	;; [unrolled: 1-line block ×3, first 2 shown]
	s_mov_b32 s12, s55
	s_mov_b32 s13, s54
	;; [unrolled: 1-line block ×3, first 2 shown]
	v_mov_b32_e32 v31, v40
	s_swappc_b64 s[30:31], s[16:17]
.LBB1_311:                              ;   in Loop: Header=BB1_82 Depth=1
	s_mov_b64 s[4:5], 0
.LBB1_312:                              ;   in Loop: Header=BB1_82 Depth=1
	s_andn2_b64 vcc, exec, s[4:5]
	s_cbranch_vccnz .LBB1_314
; %bb.313:                              ;   in Loop: Header=BB1_82 Depth=1
	s_add_u32 s8, s36, 0x1000
	s_addc_u32 s9, s37, 0
	s_getpc_b64 s[16:17]
	s_add_u32 s16, s16, _Z50ncclDevFunc_ReduceScatter_RING_LL_MinMax_f32_0_0_2v@rel32@lo+4
	s_addc_u32 s17, s17, _Z50ncclDevFunc_ReduceScatter_RING_LL_MinMax_f32_0_0_2v@rel32@hi+12
	s_mov_b64 s[4:5], s[48:49]
	s_mov_b64 s[6:7], s[38:39]
	;; [unrolled: 1-line block ×3, first 2 shown]
	s_mov_b32 s12, s55
	s_mov_b32 s13, s54
	;; [unrolled: 1-line block ×3, first 2 shown]
	v_mov_b32_e32 v31, v40
	s_swappc_b64 s[30:31], s[16:17]
.LBB1_314:                              ;   in Loop: Header=BB1_82 Depth=1
	s_mov_b64 s[4:5], 0
.LBB1_315:                              ;   in Loop: Header=BB1_82 Depth=1
	s_and_b64 vcc, exec, s[4:5]
	s_cbranch_vccz .LBB1_324
; %bb.316:                              ;   in Loop: Header=BB1_82 Depth=1
	s_sext_i32_i16 s4, s70
	s_cmpk_lt_i32 s4, 0x48
	s_mov_b64 s[4:5], -1
	s_cbranch_scc1 .LBB1_322
; %bb.317:                              ;   in Loop: Header=BB1_82 Depth=1
	s_cmpk_lg_i32 s71, 0x48
	s_cbranch_scc0 .LBB1_319
; %bb.318:                              ;   in Loop: Header=BB1_82 Depth=1
	s_add_u32 s8, s36, 0x1000
	s_addc_u32 s9, s37, 0
	s_getpc_b64 s[16:17]
	s_add_u32 s16, s16, _Z50ncclDevFunc_ReduceScatter_RING_LL_MinMax_f16_0_0_2v@rel32@lo+4
	s_addc_u32 s17, s17, _Z50ncclDevFunc_ReduceScatter_RING_LL_MinMax_f16_0_0_2v@rel32@hi+12
	s_mov_b64 s[4:5], s[48:49]
	s_mov_b64 s[6:7], s[38:39]
	;; [unrolled: 1-line block ×3, first 2 shown]
	s_mov_b32 s12, s55
	s_mov_b32 s13, s54
	;; [unrolled: 1-line block ×3, first 2 shown]
	v_mov_b32_e32 v31, v40
	s_swappc_b64 s[30:31], s[16:17]
	s_mov_b64 s[4:5], 0
.LBB1_319:                              ;   in Loop: Header=BB1_82 Depth=1
	s_andn2_b64 vcc, exec, s[4:5]
	s_cbranch_vccnz .LBB1_321
; %bb.320:                              ;   in Loop: Header=BB1_82 Depth=1
	s_add_u32 s8, s36, 0x1000
	s_addc_u32 s9, s37, 0
	s_getpc_b64 s[16:17]
	s_add_u32 s16, s16, _Z50ncclDevFunc_ReduceScatter_RING_LL_MinMax_u64_0_0_2v@rel32@lo+4
	s_addc_u32 s17, s17, _Z50ncclDevFunc_ReduceScatter_RING_LL_MinMax_u64_0_0_2v@rel32@hi+12
	s_mov_b64 s[4:5], s[48:49]
	s_mov_b64 s[6:7], s[38:39]
	;; [unrolled: 1-line block ×3, first 2 shown]
	s_mov_b32 s12, s55
	s_mov_b32 s13, s54
	;; [unrolled: 1-line block ×3, first 2 shown]
	v_mov_b32_e32 v31, v40
	s_swappc_b64 s[30:31], s[16:17]
.LBB1_321:                              ;   in Loop: Header=BB1_82 Depth=1
	s_mov_b64 s[4:5], 0
.LBB1_322:                              ;   in Loop: Header=BB1_82 Depth=1
	s_andn2_b64 vcc, exec, s[4:5]
	s_cbranch_vccnz .LBB1_324
; %bb.323:                              ;   in Loop: Header=BB1_82 Depth=1
	s_add_u32 s8, s36, 0x1000
	s_addc_u32 s9, s37, 0
	s_getpc_b64 s[16:17]
	s_add_u32 s16, s16, _Z50ncclDevFunc_ReduceScatter_RING_LL_MinMax_u32_0_0_2v@rel32@lo+4
	s_addc_u32 s17, s17, _Z50ncclDevFunc_ReduceScatter_RING_LL_MinMax_u32_0_0_2v@rel32@hi+12
	s_mov_b64 s[4:5], s[48:49]
	s_mov_b64 s[6:7], s[38:39]
	;; [unrolled: 1-line block ×3, first 2 shown]
	s_mov_b32 s12, s55
	s_mov_b32 s13, s54
	;; [unrolled: 1-line block ×3, first 2 shown]
	v_mov_b32_e32 v31, v40
	s_swappc_b64 s[30:31], s[16:17]
.LBB1_324:                              ;   in Loop: Header=BB1_82 Depth=1
	s_mov_b64 s[4:5], 0
.LBB1_325:                              ;   in Loop: Header=BB1_82 Depth=1
	s_andn2_b64 vcc, exec, s[4:5]
	s_cbranch_vccnz .LBB1_341
; %bb.326:                              ;   in Loop: Header=BB1_82 Depth=1
	s_cmpk_gt_u32 s71, 0x43
	s_mov_b64 s[4:5], -1
	s_cbranch_scc0 .LBB1_336
; %bb.327:                              ;   in Loop: Header=BB1_82 Depth=1
	s_sext_i32_i16 s4, s70
	s_cmpk_lt_i32 s4, 0x45
	s_mov_b64 s[4:5], -1
	s_cbranch_scc1 .LBB1_333
; %bb.328:                              ;   in Loop: Header=BB1_82 Depth=1
	s_cmpk_lg_i32 s71, 0x45
	s_cbranch_scc0 .LBB1_330
; %bb.329:                              ;   in Loop: Header=BB1_82 Depth=1
	s_add_u32 s8, s36, 0x1000
	s_addc_u32 s9, s37, 0
	s_getpc_b64 s[16:17]
	s_add_u32 s16, s16, _Z49ncclDevFunc_ReduceScatter_RING_LL_MinMax_u8_0_0_2v@rel32@lo+4
	s_addc_u32 s17, s17, _Z49ncclDevFunc_ReduceScatter_RING_LL_MinMax_u8_0_0_2v@rel32@hi+12
	s_mov_b64 s[4:5], s[48:49]
	s_mov_b64 s[6:7], s[38:39]
	;; [unrolled: 1-line block ×3, first 2 shown]
	s_mov_b32 s12, s55
	s_mov_b32 s13, s54
	;; [unrolled: 1-line block ×3, first 2 shown]
	v_mov_b32_e32 v31, v40
	s_swappc_b64 s[30:31], s[16:17]
	s_mov_b64 s[4:5], 0
.LBB1_330:                              ;   in Loop: Header=BB1_82 Depth=1
	s_andn2_b64 vcc, exec, s[4:5]
	s_cbranch_vccnz .LBB1_332
; %bb.331:                              ;   in Loop: Header=BB1_82 Depth=1
	s_add_u32 s8, s36, 0x1000
	s_addc_u32 s9, s37, 0
	s_getpc_b64 s[16:17]
	s_add_u32 s16, s16, _Z51ncclDevFunc_ReduceScatter_RING_LL_Prod_f8e5m2_0_0_2v@rel32@lo+4
	s_addc_u32 s17, s17, _Z51ncclDevFunc_ReduceScatter_RING_LL_Prod_f8e5m2_0_0_2v@rel32@hi+12
	s_mov_b64 s[4:5], s[48:49]
	s_mov_b64 s[6:7], s[38:39]
	;; [unrolled: 1-line block ×3, first 2 shown]
	s_mov_b32 s12, s55
	s_mov_b32 s13, s54
	;; [unrolled: 1-line block ×3, first 2 shown]
	v_mov_b32_e32 v31, v40
	s_swappc_b64 s[30:31], s[16:17]
.LBB1_332:                              ;   in Loop: Header=BB1_82 Depth=1
	s_mov_b64 s[4:5], 0
.LBB1_333:                              ;   in Loop: Header=BB1_82 Depth=1
	s_andn2_b64 vcc, exec, s[4:5]
	s_cbranch_vccnz .LBB1_335
; %bb.334:                              ;   in Loop: Header=BB1_82 Depth=1
	s_add_u32 s8, s36, 0x1000
	s_addc_u32 s9, s37, 0
	s_getpc_b64 s[16:17]
	s_add_u32 s16, s16, _Z51ncclDevFunc_ReduceScatter_RING_LL_Prod_f8e4m3_0_0_2v@rel32@lo+4
	s_addc_u32 s17, s17, _Z51ncclDevFunc_ReduceScatter_RING_LL_Prod_f8e4m3_0_0_2v@rel32@hi+12
	s_mov_b64 s[4:5], s[48:49]
	s_mov_b64 s[6:7], s[38:39]
	;; [unrolled: 1-line block ×3, first 2 shown]
	s_mov_b32 s12, s55
	s_mov_b32 s13, s54
	;; [unrolled: 1-line block ×3, first 2 shown]
	v_mov_b32_e32 v31, v40
	s_swappc_b64 s[30:31], s[16:17]
.LBB1_335:                              ;   in Loop: Header=BB1_82 Depth=1
	s_mov_b64 s[4:5], 0
.LBB1_336:                              ;   in Loop: Header=BB1_82 Depth=1
	s_and_b64 vcc, exec, s[4:5]
	s_cbranch_vccz .LBB1_341
; %bb.337:                              ;   in Loop: Header=BB1_82 Depth=1
	s_cmpk_eq_i32 s71, 0x43
	s_mov_b64 s[4:5], -1
	s_cbranch_scc1 .LBB1_339
; %bb.338:                              ;   in Loop: Header=BB1_82 Depth=1
	s_add_u32 s8, s36, 0x1000
	s_addc_u32 s9, s37, 0
	s_getpc_b64 s[16:17]
	s_add_u32 s16, s16, _Z48ncclDevFunc_ReduceScatter_RING_LL_Prod_f64_0_0_2v@rel32@lo+4
	s_addc_u32 s17, s17, _Z48ncclDevFunc_ReduceScatter_RING_LL_Prod_f64_0_0_2v@rel32@hi+12
	s_mov_b64 s[4:5], s[48:49]
	s_mov_b64 s[6:7], s[38:39]
	;; [unrolled: 1-line block ×3, first 2 shown]
	s_mov_b32 s12, s55
	s_mov_b32 s13, s54
	s_mov_b32 s14, s33
	v_mov_b32_e32 v31, v40
	s_swappc_b64 s[30:31], s[16:17]
	s_mov_b64 s[4:5], 0
.LBB1_339:                              ;   in Loop: Header=BB1_82 Depth=1
	s_andn2_b64 vcc, exec, s[4:5]
	s_cbranch_vccnz .LBB1_341
; %bb.340:                              ;   in Loop: Header=BB1_82 Depth=1
	s_add_u32 s8, s36, 0x1000
	s_addc_u32 s9, s37, 0
	s_getpc_b64 s[16:17]
	s_add_u32 s16, s16, _Z49ncclDevFunc_ReduceScatter_RING_LL_Prod_bf16_0_0_2v@rel32@lo+4
	s_addc_u32 s17, s17, _Z49ncclDevFunc_ReduceScatter_RING_LL_Prod_bf16_0_0_2v@rel32@hi+12
	s_mov_b64 s[4:5], s[48:49]
	s_mov_b64 s[6:7], s[38:39]
	s_mov_b64 s[10:11], s[34:35]
	s_mov_b32 s12, s55
	s_mov_b32 s13, s54
	;; [unrolled: 1-line block ×3, first 2 shown]
	v_mov_b32_e32 v31, v40
	s_swappc_b64 s[30:31], s[16:17]
.LBB1_341:                              ;   in Loop: Header=BB1_82 Depth=1
	s_mov_b64 s[4:5], 0
.LBB1_342:                              ;   in Loop: Header=BB1_82 Depth=1
	s_andn2_b64 vcc, exec, s[4:5]
	s_cbranch_vccnz .LBB1_412
; %bb.343:                              ;   in Loop: Header=BB1_82 Depth=1
	s_cmp_gt_u32 s71, 54
	s_mov_b64 s[4:5], -1
	s_cbranch_scc0 .LBB1_382
; %bb.344:                              ;   in Loop: Header=BB1_82 Depth=1
	s_cmp_gt_u32 s71, 59
	s_cbranch_scc0 .LBB1_365
; %bb.345:                              ;   in Loop: Header=BB1_82 Depth=1
	s_cmp_gt_u32 s71, 62
	s_cbranch_scc0 .LBB1_355
; %bb.346:                              ;   in Loop: Header=BB1_82 Depth=1
	s_sext_i32_i16 s4, s70
	s_cmp_lt_i32 s4, 64
	s_mov_b64 s[4:5], -1
	s_cbranch_scc1 .LBB1_352
; %bb.347:                              ;   in Loop: Header=BB1_82 Depth=1
	s_cmp_lg_u32 s71, 64
	s_cbranch_scc0 .LBB1_349
; %bb.348:                              ;   in Loop: Header=BB1_82 Depth=1
	s_add_u32 s8, s36, 0x1000
	s_addc_u32 s9, s37, 0
	s_getpc_b64 s[16:17]
	s_add_u32 s16, s16, _Z48ncclDevFunc_ReduceScatter_RING_LL_Prod_f32_0_0_2v@rel32@lo+4
	s_addc_u32 s17, s17, _Z48ncclDevFunc_ReduceScatter_RING_LL_Prod_f32_0_0_2v@rel32@hi+12
	s_mov_b64 s[4:5], s[48:49]
	s_mov_b64 s[6:7], s[38:39]
	;; [unrolled: 1-line block ×3, first 2 shown]
	s_mov_b32 s12, s55
	s_mov_b32 s13, s54
	;; [unrolled: 1-line block ×3, first 2 shown]
	v_mov_b32_e32 v31, v40
	s_swappc_b64 s[30:31], s[16:17]
	s_mov_b64 s[4:5], 0
.LBB1_349:                              ;   in Loop: Header=BB1_82 Depth=1
	s_andn2_b64 vcc, exec, s[4:5]
	s_cbranch_vccnz .LBB1_351
; %bb.350:                              ;   in Loop: Header=BB1_82 Depth=1
	s_add_u32 s8, s36, 0x1000
	s_addc_u32 s9, s37, 0
	s_getpc_b64 s[16:17]
	s_add_u32 s16, s16, _Z48ncclDevFunc_ReduceScatter_RING_LL_Prod_f16_0_0_2v@rel32@lo+4
	s_addc_u32 s17, s17, _Z48ncclDevFunc_ReduceScatter_RING_LL_Prod_f16_0_0_2v@rel32@hi+12
	s_mov_b64 s[4:5], s[48:49]
	s_mov_b64 s[6:7], s[38:39]
	;; [unrolled: 1-line block ×3, first 2 shown]
	s_mov_b32 s12, s55
	s_mov_b32 s13, s54
	;; [unrolled: 1-line block ×3, first 2 shown]
	v_mov_b32_e32 v31, v40
	s_swappc_b64 s[30:31], s[16:17]
.LBB1_351:                              ;   in Loop: Header=BB1_82 Depth=1
	s_mov_b64 s[4:5], 0
.LBB1_352:                              ;   in Loop: Header=BB1_82 Depth=1
	s_andn2_b64 vcc, exec, s[4:5]
	s_cbranch_vccnz .LBB1_354
; %bb.353:                              ;   in Loop: Header=BB1_82 Depth=1
	s_add_u32 s8, s36, 0x1000
	s_addc_u32 s9, s37, 0
	s_getpc_b64 s[16:17]
	s_add_u32 s16, s16, _Z48ncclDevFunc_ReduceScatter_RING_LL_Prod_u64_0_0_2v@rel32@lo+4
	s_addc_u32 s17, s17, _Z48ncclDevFunc_ReduceScatter_RING_LL_Prod_u64_0_0_2v@rel32@hi+12
	s_mov_b64 s[4:5], s[48:49]
	s_mov_b64 s[6:7], s[38:39]
	;; [unrolled: 1-line block ×3, first 2 shown]
	s_mov_b32 s12, s55
	s_mov_b32 s13, s54
	;; [unrolled: 1-line block ×3, first 2 shown]
	v_mov_b32_e32 v31, v40
	s_swappc_b64 s[30:31], s[16:17]
.LBB1_354:                              ;   in Loop: Header=BB1_82 Depth=1
	s_mov_b64 s[4:5], 0
.LBB1_355:                              ;   in Loop: Header=BB1_82 Depth=1
	s_and_b64 vcc, exec, s[4:5]
	s_cbranch_vccz .LBB1_364
; %bb.356:                              ;   in Loop: Header=BB1_82 Depth=1
	s_sext_i32_i16 s4, s70
	s_cmp_lt_i32 s4, 61
	s_mov_b64 s[4:5], -1
	s_cbranch_scc1 .LBB1_362
; %bb.357:                              ;   in Loop: Header=BB1_82 Depth=1
	s_cmp_lg_u32 s71, 61
	s_cbranch_scc0 .LBB1_359
; %bb.358:                              ;   in Loop: Header=BB1_82 Depth=1
	s_add_u32 s8, s36, 0x1000
	s_addc_u32 s9, s37, 0
	s_getpc_b64 s[16:17]
	s_add_u32 s16, s16, _Z48ncclDevFunc_ReduceScatter_RING_LL_Prod_u32_0_0_2v@rel32@lo+4
	s_addc_u32 s17, s17, _Z48ncclDevFunc_ReduceScatter_RING_LL_Prod_u32_0_0_2v@rel32@hi+12
	s_mov_b64 s[4:5], s[48:49]
	s_mov_b64 s[6:7], s[38:39]
	;; [unrolled: 1-line block ×3, first 2 shown]
	s_mov_b32 s12, s55
	s_mov_b32 s13, s54
	;; [unrolled: 1-line block ×3, first 2 shown]
	v_mov_b32_e32 v31, v40
	s_swappc_b64 s[30:31], s[16:17]
	s_mov_b64 s[4:5], 0
.LBB1_359:                              ;   in Loop: Header=BB1_82 Depth=1
	s_andn2_b64 vcc, exec, s[4:5]
	s_cbranch_vccnz .LBB1_361
; %bb.360:                              ;   in Loop: Header=BB1_82 Depth=1
	s_add_u32 s8, s36, 0x1000
	s_addc_u32 s9, s37, 0
	s_getpc_b64 s[16:17]
	s_add_u32 s16, s16, _Z47ncclDevFunc_ReduceScatter_RING_LL_Prod_u8_0_0_2v@rel32@lo+4
	s_addc_u32 s17, s17, _Z47ncclDevFunc_ReduceScatter_RING_LL_Prod_u8_0_0_2v@rel32@hi+12
	s_mov_b64 s[4:5], s[48:49]
	s_mov_b64 s[6:7], s[38:39]
	;; [unrolled: 1-line block ×3, first 2 shown]
	s_mov_b32 s12, s55
	s_mov_b32 s13, s54
	;; [unrolled: 1-line block ×3, first 2 shown]
	v_mov_b32_e32 v31, v40
	s_swappc_b64 s[30:31], s[16:17]
.LBB1_361:                              ;   in Loop: Header=BB1_82 Depth=1
	s_mov_b64 s[4:5], 0
.LBB1_362:                              ;   in Loop: Header=BB1_82 Depth=1
	s_andn2_b64 vcc, exec, s[4:5]
	s_cbranch_vccnz .LBB1_364
; %bb.363:                              ;   in Loop: Header=BB1_82 Depth=1
	s_add_u32 s8, s36, 0x1000
	s_addc_u32 s9, s37, 0
	s_getpc_b64 s[16:17]
	s_add_u32 s16, s16, _Z50ncclDevFunc_ReduceScatter_RING_LL_Sum_f8e5m2_0_0_2v@rel32@lo+4
	s_addc_u32 s17, s17, _Z50ncclDevFunc_ReduceScatter_RING_LL_Sum_f8e5m2_0_0_2v@rel32@hi+12
	s_mov_b64 s[4:5], s[48:49]
	s_mov_b64 s[6:7], s[38:39]
	;; [unrolled: 1-line block ×3, first 2 shown]
	s_mov_b32 s12, s55
	s_mov_b32 s13, s54
	;; [unrolled: 1-line block ×3, first 2 shown]
	v_mov_b32_e32 v31, v40
	s_swappc_b64 s[30:31], s[16:17]
.LBB1_364:                              ;   in Loop: Header=BB1_82 Depth=1
	s_mov_b64 s[4:5], 0
.LBB1_365:                              ;   in Loop: Header=BB1_82 Depth=1
	s_andn2_b64 vcc, exec, s[4:5]
	s_cbranch_vccnz .LBB1_381
; %bb.366:                              ;   in Loop: Header=BB1_82 Depth=1
	s_cmp_gt_u32 s71, 56
	s_mov_b64 s[4:5], -1
	s_cbranch_scc0 .LBB1_376
; %bb.367:                              ;   in Loop: Header=BB1_82 Depth=1
	s_sext_i32_i16 s4, s70
	s_cmp_lt_i32 s4, 58
	s_mov_b64 s[4:5], -1
	s_cbranch_scc1 .LBB1_373
; %bb.368:                              ;   in Loop: Header=BB1_82 Depth=1
	s_cmp_lg_u32 s71, 58
	s_cbranch_scc0 .LBB1_370
; %bb.369:                              ;   in Loop: Header=BB1_82 Depth=1
	s_add_u32 s8, s36, 0x1000
	s_addc_u32 s9, s37, 0
	s_getpc_b64 s[16:17]
	s_add_u32 s16, s16, _Z50ncclDevFunc_ReduceScatter_RING_LL_Sum_f8e4m3_0_0_2v@rel32@lo+4
	s_addc_u32 s17, s17, _Z50ncclDevFunc_ReduceScatter_RING_LL_Sum_f8e4m3_0_0_2v@rel32@hi+12
	s_mov_b64 s[4:5], s[48:49]
	s_mov_b64 s[6:7], s[38:39]
	;; [unrolled: 1-line block ×3, first 2 shown]
	s_mov_b32 s12, s55
	s_mov_b32 s13, s54
	;; [unrolled: 1-line block ×3, first 2 shown]
	v_mov_b32_e32 v31, v40
	s_swappc_b64 s[30:31], s[16:17]
	s_mov_b64 s[4:5], 0
.LBB1_370:                              ;   in Loop: Header=BB1_82 Depth=1
	s_andn2_b64 vcc, exec, s[4:5]
	s_cbranch_vccnz .LBB1_372
; %bb.371:                              ;   in Loop: Header=BB1_82 Depth=1
	s_add_u32 s8, s36, 0x1000
	s_addc_u32 s9, s37, 0
	s_getpc_b64 s[16:17]
	s_add_u32 s16, s16, _Z48ncclDevFunc_ReduceScatter_RING_LL_Sum_bf16_0_0_2v@rel32@lo+4
	s_addc_u32 s17, s17, _Z48ncclDevFunc_ReduceScatter_RING_LL_Sum_bf16_0_0_2v@rel32@hi+12
	s_mov_b64 s[4:5], s[48:49]
	s_mov_b64 s[6:7], s[38:39]
	;; [unrolled: 1-line block ×3, first 2 shown]
	s_mov_b32 s12, s55
	s_mov_b32 s13, s54
	;; [unrolled: 1-line block ×3, first 2 shown]
	v_mov_b32_e32 v31, v40
	s_swappc_b64 s[30:31], s[16:17]
.LBB1_372:                              ;   in Loop: Header=BB1_82 Depth=1
	s_mov_b64 s[4:5], 0
.LBB1_373:                              ;   in Loop: Header=BB1_82 Depth=1
	s_andn2_b64 vcc, exec, s[4:5]
	s_cbranch_vccnz .LBB1_375
; %bb.374:                              ;   in Loop: Header=BB1_82 Depth=1
	s_add_u32 s8, s36, 0x1000
	s_addc_u32 s9, s37, 0
	s_getpc_b64 s[16:17]
	s_add_u32 s16, s16, _Z47ncclDevFunc_ReduceScatter_RING_LL_Sum_f64_0_0_2v@rel32@lo+4
	s_addc_u32 s17, s17, _Z47ncclDevFunc_ReduceScatter_RING_LL_Sum_f64_0_0_2v@rel32@hi+12
	s_mov_b64 s[4:5], s[48:49]
	s_mov_b64 s[6:7], s[38:39]
	;; [unrolled: 1-line block ×3, first 2 shown]
	s_mov_b32 s12, s55
	s_mov_b32 s13, s54
	;; [unrolled: 1-line block ×3, first 2 shown]
	v_mov_b32_e32 v31, v40
	s_swappc_b64 s[30:31], s[16:17]
.LBB1_375:                              ;   in Loop: Header=BB1_82 Depth=1
	s_mov_b64 s[4:5], 0
.LBB1_376:                              ;   in Loop: Header=BB1_82 Depth=1
	s_and_b64 vcc, exec, s[4:5]
	s_cbranch_vccz .LBB1_381
; %bb.377:                              ;   in Loop: Header=BB1_82 Depth=1
	s_cmp_eq_u32 s71, 56
	s_mov_b64 s[4:5], -1
	s_cbranch_scc1 .LBB1_379
; %bb.378:                              ;   in Loop: Header=BB1_82 Depth=1
	s_add_u32 s8, s36, 0x1000
	s_addc_u32 s9, s37, 0
	s_getpc_b64 s[16:17]
	s_add_u32 s16, s16, _Z47ncclDevFunc_ReduceScatter_RING_LL_Sum_f16_0_0_2v@rel32@lo+4
	s_addc_u32 s17, s17, _Z47ncclDevFunc_ReduceScatter_RING_LL_Sum_f16_0_0_2v@rel32@hi+12
	s_mov_b64 s[4:5], s[48:49]
	s_mov_b64 s[6:7], s[38:39]
	;; [unrolled: 1-line block ×3, first 2 shown]
	s_mov_b32 s12, s55
	s_mov_b32 s13, s54
	;; [unrolled: 1-line block ×3, first 2 shown]
	v_mov_b32_e32 v31, v40
	s_swappc_b64 s[30:31], s[16:17]
	s_mov_b64 s[4:5], 0
.LBB1_379:                              ;   in Loop: Header=BB1_82 Depth=1
	s_andn2_b64 vcc, exec, s[4:5]
	s_cbranch_vccnz .LBB1_381
; %bb.380:                              ;   in Loop: Header=BB1_82 Depth=1
	s_add_u32 s8, s36, 0x1000
	s_addc_u32 s9, s37, 0
	s_getpc_b64 s[16:17]
	s_add_u32 s16, s16, _Z47ncclDevFunc_ReduceScatter_RING_LL_Sum_f32_0_0_2v@rel32@lo+4
	s_addc_u32 s17, s17, _Z47ncclDevFunc_ReduceScatter_RING_LL_Sum_f32_0_0_2v@rel32@hi+12
	s_mov_b64 s[4:5], s[48:49]
	s_mov_b64 s[6:7], s[38:39]
	;; [unrolled: 1-line block ×3, first 2 shown]
	s_mov_b32 s12, s55
	s_mov_b32 s13, s54
	;; [unrolled: 1-line block ×3, first 2 shown]
	v_mov_b32_e32 v31, v40
	s_swappc_b64 s[30:31], s[16:17]
.LBB1_381:                              ;   in Loop: Header=BB1_82 Depth=1
	s_mov_b64 s[4:5], 0
.LBB1_382:                              ;   in Loop: Header=BB1_82 Depth=1
	s_andn2_b64 vcc, exec, s[4:5]
	s_cbranch_vccnz .LBB1_412
; %bb.383:                              ;   in Loop: Header=BB1_82 Depth=1
	s_cmp_gt_u32 s71, 48
	s_mov_b64 s[4:5], -1
	s_cbranch_scc0 .LBB1_400
; %bb.384:                              ;   in Loop: Header=BB1_82 Depth=1
	s_cmp_gt_u32 s71, 51
	s_cbranch_scc0 .LBB1_394
; %bb.385:                              ;   in Loop: Header=BB1_82 Depth=1
	s_sext_i32_i16 s4, s70
	s_cmp_lt_i32 s4, 53
	s_mov_b64 s[4:5], -1
	s_cbranch_scc1 .LBB1_391
; %bb.386:                              ;   in Loop: Header=BB1_82 Depth=1
	s_cmp_lg_u32 s71, 53
	s_cbranch_scc0 .LBB1_388
; %bb.387:                              ;   in Loop: Header=BB1_82 Depth=1
	s_add_u32 s8, s36, 0x1000
	s_addc_u32 s9, s37, 0
	s_getpc_b64 s[16:17]
	s_add_u32 s16, s16, _Z47ncclDevFunc_ReduceScatter_RING_LL_Sum_u64_0_0_2v@rel32@lo+4
	s_addc_u32 s17, s17, _Z47ncclDevFunc_ReduceScatter_RING_LL_Sum_u64_0_0_2v@rel32@hi+12
	s_mov_b64 s[4:5], s[48:49]
	s_mov_b64 s[6:7], s[38:39]
	;; [unrolled: 1-line block ×3, first 2 shown]
	s_mov_b32 s12, s55
	s_mov_b32 s13, s54
	;; [unrolled: 1-line block ×3, first 2 shown]
	v_mov_b32_e32 v31, v40
	s_swappc_b64 s[30:31], s[16:17]
	s_mov_b64 s[4:5], 0
.LBB1_388:                              ;   in Loop: Header=BB1_82 Depth=1
	s_andn2_b64 vcc, exec, s[4:5]
	s_cbranch_vccnz .LBB1_390
; %bb.389:                              ;   in Loop: Header=BB1_82 Depth=1
	s_add_u32 s8, s36, 0x1000
	s_addc_u32 s9, s37, 0
	s_getpc_b64 s[16:17]
	s_add_u32 s16, s16, _Z47ncclDevFunc_ReduceScatter_RING_LL_Sum_u32_0_0_2v@rel32@lo+4
	s_addc_u32 s17, s17, _Z47ncclDevFunc_ReduceScatter_RING_LL_Sum_u32_0_0_2v@rel32@hi+12
	s_mov_b64 s[4:5], s[48:49]
	s_mov_b64 s[6:7], s[38:39]
	;; [unrolled: 1-line block ×3, first 2 shown]
	s_mov_b32 s12, s55
	s_mov_b32 s13, s54
	;; [unrolled: 1-line block ×3, first 2 shown]
	v_mov_b32_e32 v31, v40
	s_swappc_b64 s[30:31], s[16:17]
.LBB1_390:                              ;   in Loop: Header=BB1_82 Depth=1
	s_mov_b64 s[4:5], 0
.LBB1_391:                              ;   in Loop: Header=BB1_82 Depth=1
	s_andn2_b64 vcc, exec, s[4:5]
	s_cbranch_vccnz .LBB1_393
; %bb.392:                              ;   in Loop: Header=BB1_82 Depth=1
	s_add_u32 s8, s36, 0x1000
	s_addc_u32 s9, s37, 0
	s_getpc_b64 s[16:17]
	s_add_u32 s16, s16, _Z46ncclDevFunc_ReduceScatter_RING_LL_Sum_u8_0_0_2v@rel32@lo+4
	s_addc_u32 s17, s17, _Z46ncclDevFunc_ReduceScatter_RING_LL_Sum_u8_0_0_2v@rel32@hi+12
	s_mov_b64 s[4:5], s[48:49]
	s_mov_b64 s[6:7], s[38:39]
	;; [unrolled: 1-line block ×3, first 2 shown]
	s_mov_b32 s12, s55
	s_mov_b32 s13, s54
	;; [unrolled: 1-line block ×3, first 2 shown]
	v_mov_b32_e32 v31, v40
	s_swappc_b64 s[30:31], s[16:17]
.LBB1_393:                              ;   in Loop: Header=BB1_82 Depth=1
	s_mov_b64 s[4:5], 0
.LBB1_394:                              ;   in Loop: Header=BB1_82 Depth=1
	s_and_b64 vcc, exec, s[4:5]
	s_cbranch_vccz .LBB1_399
; %bb.395:                              ;   in Loop: Header=BB1_82 Depth=1
	s_cmp_lg_u32 s71, 49
	s_mov_b64 s[4:5], -1
	s_cbranch_scc0 .LBB1_397
; %bb.396:                              ;   in Loop: Header=BB1_82 Depth=1
	s_add_u32 s8, s36, 0x1000
	s_addc_u32 s9, s37, 0
	s_getpc_b64 s[16:17]
	s_add_u32 s16, s16, _Z45ncclDevFunc_AllGather_PAT_SIMPLE_Sum_i8_0_0_2v@rel32@lo+4
	s_addc_u32 s17, s17, _Z45ncclDevFunc_AllGather_PAT_SIMPLE_Sum_i8_0_0_2v@rel32@hi+12
	s_mov_b64 s[4:5], s[48:49]
	s_mov_b64 s[6:7], s[38:39]
	;; [unrolled: 1-line block ×3, first 2 shown]
	s_mov_b32 s12, s55
	s_mov_b32 s13, s54
	;; [unrolled: 1-line block ×3, first 2 shown]
	v_mov_b32_e32 v31, v40
	s_swappc_b64 s[30:31], s[16:17]
	s_mov_b64 s[4:5], 0
.LBB1_397:                              ;   in Loop: Header=BB1_82 Depth=1
	s_andn2_b64 vcc, exec, s[4:5]
	s_cbranch_vccnz .LBB1_399
; %bb.398:                              ;   in Loop: Header=BB1_82 Depth=1
	s_add_u32 s8, s36, 0x1000
	s_addc_u32 s9, s37, 0
	s_getpc_b64 s[16:17]
	s_add_u32 s16, s16, _Z41ncclDevFunc_AllGather_PAT_LL_Sum_i8_0_0_2v@rel32@lo+4
	s_addc_u32 s17, s17, _Z41ncclDevFunc_AllGather_PAT_LL_Sum_i8_0_0_2v@rel32@hi+12
	s_mov_b64 s[4:5], s[48:49]
	s_mov_b64 s[6:7], s[38:39]
	;; [unrolled: 1-line block ×3, first 2 shown]
	s_mov_b32 s12, s55
	s_mov_b32 s13, s54
	;; [unrolled: 1-line block ×3, first 2 shown]
	v_mov_b32_e32 v31, v40
	s_swappc_b64 s[30:31], s[16:17]
.LBB1_399:                              ;   in Loop: Header=BB1_82 Depth=1
	s_mov_b64 s[4:5], 0
.LBB1_400:                              ;   in Loop: Header=BB1_82 Depth=1
	s_andn2_b64 vcc, exec, s[4:5]
	s_cbranch_vccnz .LBB1_412
; %bb.401:                              ;   in Loop: Header=BB1_82 Depth=1
	s_cmp_gt_u32 s71, 45
	s_mov_b64 s[4:5], -1
	s_cbranch_scc0 .LBB1_407
; %bb.402:                              ;   in Loop: Header=BB1_82 Depth=1
	s_cmp_lg_u32 s71, 46
	s_cbranch_scc0 .LBB1_404
; %bb.403:                              ;   in Loop: Header=BB1_82 Depth=1
	s_add_u32 s8, s36, 0x1000
	s_addc_u32 s9, s37, 0
	s_getpc_b64 s[16:17]
	s_add_u32 s16, s16, _Z46ncclDevFunc_AllGather_RING_SIMPLE_Sum_i8_0_0_2v@rel32@lo+4
	s_addc_u32 s17, s17, _Z46ncclDevFunc_AllGather_RING_SIMPLE_Sum_i8_0_0_2v@rel32@hi+12
	s_mov_b64 s[4:5], s[48:49]
	s_mov_b64 s[6:7], s[38:39]
	;; [unrolled: 1-line block ×3, first 2 shown]
	s_mov_b32 s12, s55
	s_mov_b32 s13, s54
	;; [unrolled: 1-line block ×3, first 2 shown]
	v_mov_b32_e32 v31, v40
	s_swappc_b64 s[30:31], s[16:17]
	s_mov_b64 s[4:5], 0
.LBB1_404:                              ;   in Loop: Header=BB1_82 Depth=1
	s_andn2_b64 vcc, exec, s[4:5]
	s_cbranch_vccnz .LBB1_406
; %bb.405:                              ;   in Loop: Header=BB1_82 Depth=1
	s_add_u32 s8, s36, 0x1000
	s_addc_u32 s9, s37, 0
	s_getpc_b64 s[16:17]
	s_add_u32 s16, s16, _Z42ncclDevFunc_AllGather_RING_LL_Sum_i8_0_0_2v@rel32@lo+4
	s_addc_u32 s17, s17, _Z42ncclDevFunc_AllGather_RING_LL_Sum_i8_0_0_2v@rel32@hi+12
	s_mov_b64 s[4:5], s[48:49]
	s_mov_b64 s[6:7], s[38:39]
	;; [unrolled: 1-line block ×3, first 2 shown]
	s_mov_b32 s12, s55
	s_mov_b32 s13, s54
	;; [unrolled: 1-line block ×3, first 2 shown]
	v_mov_b32_e32 v31, v40
	s_swappc_b64 s[30:31], s[16:17]
.LBB1_406:                              ;   in Loop: Header=BB1_82 Depth=1
	s_mov_b64 s[4:5], 0
.LBB1_407:                              ;   in Loop: Header=BB1_82 Depth=1
	s_andn2_b64 vcc, exec, s[4:5]
	s_cbranch_vccnz .LBB1_412
; %bb.408:                              ;   in Loop: Header=BB1_82 Depth=1
	s_cmp_eq_u32 s71, 45
	s_mov_b64 s[4:5], -1
	s_cbranch_scc1 .LBB1_410
; %bb.409:                              ;   in Loop: Header=BB1_82 Depth=1
	s_add_u32 s8, s36, 0x1000
	s_addc_u32 s9, s37, 0
	s_getpc_b64 s[16:17]
	s_add_u32 s16, s16, _Z51ncclDevFunc_Reduce_RING_SIMPLE_SumPostDiv_u32_0_0_2v@rel32@lo+4
	s_addc_u32 s17, s17, _Z51ncclDevFunc_Reduce_RING_SIMPLE_SumPostDiv_u32_0_0_2v@rel32@hi+12
	s_mov_b64 s[4:5], s[48:49]
	s_mov_b64 s[6:7], s[38:39]
	;; [unrolled: 1-line block ×3, first 2 shown]
	s_mov_b32 s12, s55
	s_mov_b32 s13, s54
	;; [unrolled: 1-line block ×3, first 2 shown]
	v_mov_b32_e32 v31, v40
	s_swappc_b64 s[30:31], s[16:17]
	s_mov_b64 s[4:5], 0
.LBB1_410:                              ;   in Loop: Header=BB1_82 Depth=1
	s_andn2_b64 vcc, exec, s[4:5]
	s_cbranch_vccnz .LBB1_412
; %bb.411:                              ;   in Loop: Header=BB1_82 Depth=1
	s_add_u32 s8, s36, 0x1000
	s_addc_u32 s9, s37, 0
	s_getpc_b64 s[16:17]
	s_add_u32 s16, s16, _Z51ncclDevFunc_Reduce_RING_SIMPLE_SumPostDiv_u64_0_0_2v@rel32@lo+4
	s_addc_u32 s17, s17, _Z51ncclDevFunc_Reduce_RING_SIMPLE_SumPostDiv_u64_0_0_2v@rel32@hi+12
	s_mov_b64 s[4:5], s[48:49]
	s_mov_b64 s[6:7], s[38:39]
	;; [unrolled: 1-line block ×3, first 2 shown]
	s_mov_b32 s12, s55
	s_mov_b32 s13, s54
	;; [unrolled: 1-line block ×3, first 2 shown]
	v_mov_b32_e32 v31, v40
	s_swappc_b64 s[30:31], s[16:17]
.LBB1_412:                              ;   in Loop: Header=BB1_82 Depth=1
	s_mov_b64 s[4:5], 0
.LBB1_413:                              ;   in Loop: Header=BB1_82 Depth=1
	s_andn2_b64 vcc, exec, s[4:5]
	s_cbranch_vccnz .LBB1_568
; %bb.414:                              ;   in Loop: Header=BB1_82 Depth=1
	s_cmp_gt_u32 s71, 21
	s_mov_b64 s[4:5], -1
	s_cbranch_scc0 .LBB1_493
; %bb.415:                              ;   in Loop: Header=BB1_82 Depth=1
	s_cmp_gt_u32 s71, 32
	s_cbranch_scc0 .LBB1_454
; %bb.416:                              ;   in Loop: Header=BB1_82 Depth=1
	s_cmp_gt_u32 s71, 37
	;; [unrolled: 3-line block ×3, first 2 shown]
	s_cbranch_scc0 .LBB1_427
; %bb.418:                              ;   in Loop: Header=BB1_82 Depth=1
	s_sext_i32_i16 s4, s70
	s_cmp_lt_i32 s4, 42
	s_mov_b64 s[4:5], -1
	s_cbranch_scc1 .LBB1_424
; %bb.419:                              ;   in Loop: Header=BB1_82 Depth=1
	s_cmp_lg_u32 s71, 42
	s_cbranch_scc0 .LBB1_421
; %bb.420:                              ;   in Loop: Header=BB1_82 Depth=1
	s_add_u32 s8, s36, 0x1000
	s_addc_u32 s9, s37, 0
	s_getpc_b64 s[16:17]
	s_add_u32 s16, s16, _Z50ncclDevFunc_Reduce_RING_SIMPLE_SumPostDiv_u8_0_0_2v@rel32@lo+4
	s_addc_u32 s17, s17, _Z50ncclDevFunc_Reduce_RING_SIMPLE_SumPostDiv_u8_0_0_2v@rel32@hi+12
	s_mov_b64 s[4:5], s[48:49]
	s_mov_b64 s[6:7], s[38:39]
	;; [unrolled: 1-line block ×3, first 2 shown]
	s_mov_b32 s12, s55
	s_mov_b32 s13, s54
	;; [unrolled: 1-line block ×3, first 2 shown]
	v_mov_b32_e32 v31, v40
	s_swappc_b64 s[30:31], s[16:17]
	s_mov_b64 s[4:5], 0
.LBB1_421:                              ;   in Loop: Header=BB1_82 Depth=1
	s_andn2_b64 vcc, exec, s[4:5]
	s_cbranch_vccnz .LBB1_423
; %bb.422:                              ;   in Loop: Header=BB1_82 Depth=1
	s_add_u32 s8, s36, 0x1000
	s_addc_u32 s9, s37, 0
	s_getpc_b64 s[16:17]
	s_add_u32 s16, s16, _Z53ncclDevFunc_Reduce_RING_SIMPLE_PreMulSum_f8e5m2_0_0_2v@rel32@lo+4
	s_addc_u32 s17, s17, _Z53ncclDevFunc_Reduce_RING_SIMPLE_PreMulSum_f8e5m2_0_0_2v@rel32@hi+12
	s_mov_b64 s[4:5], s[48:49]
	s_mov_b64 s[6:7], s[38:39]
	;; [unrolled: 1-line block ×3, first 2 shown]
	s_mov_b32 s12, s55
	s_mov_b32 s13, s54
	;; [unrolled: 1-line block ×3, first 2 shown]
	v_mov_b32_e32 v31, v40
	s_swappc_b64 s[30:31], s[16:17]
.LBB1_423:                              ;   in Loop: Header=BB1_82 Depth=1
	s_mov_b64 s[4:5], 0
.LBB1_424:                              ;   in Loop: Header=BB1_82 Depth=1
	s_andn2_b64 vcc, exec, s[4:5]
	s_cbranch_vccnz .LBB1_426
; %bb.425:                              ;   in Loop: Header=BB1_82 Depth=1
	s_add_u32 s8, s36, 0x1000
	s_addc_u32 s9, s37, 0
	s_getpc_b64 s[16:17]
	s_add_u32 s16, s16, _Z53ncclDevFunc_Reduce_RING_SIMPLE_PreMulSum_f8e4m3_0_0_2v@rel32@lo+4
	s_addc_u32 s17, s17, _Z53ncclDevFunc_Reduce_RING_SIMPLE_PreMulSum_f8e4m3_0_0_2v@rel32@hi+12
	s_mov_b64 s[4:5], s[48:49]
	s_mov_b64 s[6:7], s[38:39]
	;; [unrolled: 1-line block ×3, first 2 shown]
	s_mov_b32 s12, s55
	s_mov_b32 s13, s54
	;; [unrolled: 1-line block ×3, first 2 shown]
	v_mov_b32_e32 v31, v40
	s_swappc_b64 s[30:31], s[16:17]
.LBB1_426:                              ;   in Loop: Header=BB1_82 Depth=1
	s_mov_b64 s[4:5], 0
.LBB1_427:                              ;   in Loop: Header=BB1_82 Depth=1
	s_and_b64 vcc, exec, s[4:5]
	s_cbranch_vccz .LBB1_436
; %bb.428:                              ;   in Loop: Header=BB1_82 Depth=1
	s_sext_i32_i16 s4, s70
	s_cmp_lt_i32 s4, 39
	s_mov_b64 s[4:5], -1
	s_cbranch_scc1 .LBB1_434
; %bb.429:                              ;   in Loop: Header=BB1_82 Depth=1
	s_cmp_lg_u32 s71, 39
	s_cbranch_scc0 .LBB1_431
; %bb.430:                              ;   in Loop: Header=BB1_82 Depth=1
	s_add_u32 s8, s36, 0x1000
	s_addc_u32 s9, s37, 0
	s_getpc_b64 s[16:17]
	s_add_u32 s16, s16, _Z51ncclDevFunc_Reduce_RING_SIMPLE_PreMulSum_bf16_0_1_2v@rel32@lo+4
	s_addc_u32 s17, s17, _Z51ncclDevFunc_Reduce_RING_SIMPLE_PreMulSum_bf16_0_1_2v@rel32@hi+12
	s_mov_b64 s[4:5], s[48:49]
	s_mov_b64 s[6:7], s[38:39]
	;; [unrolled: 1-line block ×3, first 2 shown]
	s_mov_b32 s12, s55
	s_mov_b32 s13, s54
	;; [unrolled: 1-line block ×3, first 2 shown]
	v_mov_b32_e32 v31, v40
	s_swappc_b64 s[30:31], s[16:17]
	s_mov_b64 s[4:5], 0
.LBB1_431:                              ;   in Loop: Header=BB1_82 Depth=1
	s_andn2_b64 vcc, exec, s[4:5]
	s_cbranch_vccnz .LBB1_433
; %bb.432:                              ;   in Loop: Header=BB1_82 Depth=1
	s_add_u32 s8, s36, 0x1000
	s_addc_u32 s9, s37, 0
	s_getpc_b64 s[16:17]
	s_add_u32 s16, s16, _Z51ncclDevFunc_Reduce_RING_SIMPLE_PreMulSum_bf16_0_0_2v@rel32@lo+4
	s_addc_u32 s17, s17, _Z51ncclDevFunc_Reduce_RING_SIMPLE_PreMulSum_bf16_0_0_2v@rel32@hi+12
	s_mov_b64 s[4:5], s[48:49]
	s_mov_b64 s[6:7], s[38:39]
	;; [unrolled: 1-line block ×3, first 2 shown]
	s_mov_b32 s12, s55
	s_mov_b32 s13, s54
	;; [unrolled: 1-line block ×3, first 2 shown]
	v_mov_b32_e32 v31, v40
	s_swappc_b64 s[30:31], s[16:17]
.LBB1_433:                              ;   in Loop: Header=BB1_82 Depth=1
	s_mov_b64 s[4:5], 0
.LBB1_434:                              ;   in Loop: Header=BB1_82 Depth=1
	s_andn2_b64 vcc, exec, s[4:5]
	s_cbranch_vccnz .LBB1_436
; %bb.435:                              ;   in Loop: Header=BB1_82 Depth=1
	s_add_u32 s8, s36, 0x1000
	s_addc_u32 s9, s37, 0
	s_getpc_b64 s[16:17]
	s_add_u32 s16, s16, _Z50ncclDevFunc_Reduce_RING_SIMPLE_PreMulSum_f64_0_0_2v@rel32@lo+4
	s_addc_u32 s17, s17, _Z50ncclDevFunc_Reduce_RING_SIMPLE_PreMulSum_f64_0_0_2v@rel32@hi+12
	s_mov_b64 s[4:5], s[48:49]
	s_mov_b64 s[6:7], s[38:39]
	;; [unrolled: 1-line block ×3, first 2 shown]
	s_mov_b32 s12, s55
	s_mov_b32 s13, s54
	;; [unrolled: 1-line block ×3, first 2 shown]
	v_mov_b32_e32 v31, v40
	s_swappc_b64 s[30:31], s[16:17]
.LBB1_436:                              ;   in Loop: Header=BB1_82 Depth=1
	s_mov_b64 s[4:5], 0
.LBB1_437:                              ;   in Loop: Header=BB1_82 Depth=1
	s_andn2_b64 vcc, exec, s[4:5]
	s_cbranch_vccnz .LBB1_453
; %bb.438:                              ;   in Loop: Header=BB1_82 Depth=1
	s_cmp_gt_u32 s71, 34
	s_mov_b64 s[4:5], -1
	s_cbranch_scc0 .LBB1_448
; %bb.439:                              ;   in Loop: Header=BB1_82 Depth=1
	s_sext_i32_i16 s4, s70
	s_cmp_lt_i32 s4, 36
	s_mov_b64 s[4:5], -1
	s_cbranch_scc1 .LBB1_445
; %bb.440:                              ;   in Loop: Header=BB1_82 Depth=1
	s_cmp_lg_u32 s71, 36
	s_cbranch_scc0 .LBB1_442
; %bb.441:                              ;   in Loop: Header=BB1_82 Depth=1
	s_add_u32 s8, s36, 0x1000
	s_addc_u32 s9, s37, 0
	s_getpc_b64 s[16:17]
	s_add_u32 s16, s16, _Z50ncclDevFunc_Reduce_RING_SIMPLE_PreMulSum_f32_0_0_2v@rel32@lo+4
	s_addc_u32 s17, s17, _Z50ncclDevFunc_Reduce_RING_SIMPLE_PreMulSum_f32_0_0_2v@rel32@hi+12
	s_mov_b64 s[4:5], s[48:49]
	s_mov_b64 s[6:7], s[38:39]
	;; [unrolled: 1-line block ×3, first 2 shown]
	s_mov_b32 s12, s55
	s_mov_b32 s13, s54
	;; [unrolled: 1-line block ×3, first 2 shown]
	v_mov_b32_e32 v31, v40
	s_swappc_b64 s[30:31], s[16:17]
	s_mov_b64 s[4:5], 0
.LBB1_442:                              ;   in Loop: Header=BB1_82 Depth=1
	s_andn2_b64 vcc, exec, s[4:5]
	s_cbranch_vccnz .LBB1_444
; %bb.443:                              ;   in Loop: Header=BB1_82 Depth=1
	s_add_u32 s8, s36, 0x1000
	s_addc_u32 s9, s37, 0
	s_getpc_b64 s[16:17]
	s_add_u32 s16, s16, _Z50ncclDevFunc_Reduce_RING_SIMPLE_PreMulSum_f16_0_0_2v@rel32@lo+4
	s_addc_u32 s17, s17, _Z50ncclDevFunc_Reduce_RING_SIMPLE_PreMulSum_f16_0_0_2v@rel32@hi+12
	s_mov_b64 s[4:5], s[48:49]
	s_mov_b64 s[6:7], s[38:39]
	;; [unrolled: 1-line block ×3, first 2 shown]
	s_mov_b32 s12, s55
	s_mov_b32 s13, s54
	;; [unrolled: 1-line block ×3, first 2 shown]
	v_mov_b32_e32 v31, v40
	s_swappc_b64 s[30:31], s[16:17]
.LBB1_444:                              ;   in Loop: Header=BB1_82 Depth=1
	s_mov_b64 s[4:5], 0
.LBB1_445:                              ;   in Loop: Header=BB1_82 Depth=1
	s_andn2_b64 vcc, exec, s[4:5]
	s_cbranch_vccnz .LBB1_447
; %bb.446:                              ;   in Loop: Header=BB1_82 Depth=1
	s_add_u32 s8, s36, 0x1000
	s_addc_u32 s9, s37, 0
	s_getpc_b64 s[16:17]
	s_add_u32 s16, s16, _Z50ncclDevFunc_Reduce_RING_SIMPLE_PreMulSum_u64_0_0_2v@rel32@lo+4
	s_addc_u32 s17, s17, _Z50ncclDevFunc_Reduce_RING_SIMPLE_PreMulSum_u64_0_0_2v@rel32@hi+12
	s_mov_b64 s[4:5], s[48:49]
	s_mov_b64 s[6:7], s[38:39]
	;; [unrolled: 1-line block ×3, first 2 shown]
	s_mov_b32 s12, s55
	s_mov_b32 s13, s54
	;; [unrolled: 1-line block ×3, first 2 shown]
	v_mov_b32_e32 v31, v40
	s_swappc_b64 s[30:31], s[16:17]
.LBB1_447:                              ;   in Loop: Header=BB1_82 Depth=1
	s_mov_b64 s[4:5], 0
.LBB1_448:                              ;   in Loop: Header=BB1_82 Depth=1
	s_and_b64 vcc, exec, s[4:5]
	s_cbranch_vccz .LBB1_453
; %bb.449:                              ;   in Loop: Header=BB1_82 Depth=1
	s_cmp_eq_u32 s71, 34
	s_mov_b64 s[4:5], -1
	s_cbranch_scc1 .LBB1_451
; %bb.450:                              ;   in Loop: Header=BB1_82 Depth=1
	s_add_u32 s8, s36, 0x1000
	s_addc_u32 s9, s37, 0
	s_getpc_b64 s[16:17]
	s_add_u32 s16, s16, _Z49ncclDevFunc_Reduce_RING_SIMPLE_PreMulSum_u8_0_0_2v@rel32@lo+4
	s_addc_u32 s17, s17, _Z49ncclDevFunc_Reduce_RING_SIMPLE_PreMulSum_u8_0_0_2v@rel32@hi+12
	s_mov_b64 s[4:5], s[48:49]
	s_mov_b64 s[6:7], s[38:39]
	s_mov_b64 s[10:11], s[34:35]
	s_mov_b32 s12, s55
	s_mov_b32 s13, s54
	;; [unrolled: 1-line block ×3, first 2 shown]
	v_mov_b32_e32 v31, v40
	s_swappc_b64 s[30:31], s[16:17]
	s_mov_b64 s[4:5], 0
.LBB1_451:                              ;   in Loop: Header=BB1_82 Depth=1
	s_andn2_b64 vcc, exec, s[4:5]
	s_cbranch_vccnz .LBB1_453
; %bb.452:                              ;   in Loop: Header=BB1_82 Depth=1
	s_add_u32 s8, s36, 0x1000
	s_addc_u32 s9, s37, 0
	s_getpc_b64 s[16:17]
	s_add_u32 s16, s16, _Z50ncclDevFunc_Reduce_RING_SIMPLE_PreMulSum_u32_0_0_2v@rel32@lo+4
	s_addc_u32 s17, s17, _Z50ncclDevFunc_Reduce_RING_SIMPLE_PreMulSum_u32_0_0_2v@rel32@hi+12
	s_mov_b64 s[4:5], s[48:49]
	s_mov_b64 s[6:7], s[38:39]
	;; [unrolled: 1-line block ×3, first 2 shown]
	s_mov_b32 s12, s55
	s_mov_b32 s13, s54
	;; [unrolled: 1-line block ×3, first 2 shown]
	v_mov_b32_e32 v31, v40
	s_swappc_b64 s[30:31], s[16:17]
.LBB1_453:                              ;   in Loop: Header=BB1_82 Depth=1
	s_mov_b64 s[4:5], 0
.LBB1_454:                              ;   in Loop: Header=BB1_82 Depth=1
	s_andn2_b64 vcc, exec, s[4:5]
	s_cbranch_vccnz .LBB1_492
; %bb.455:                              ;   in Loop: Header=BB1_82 Depth=1
	s_cmp_gt_u32 s71, 26
	s_mov_b64 s[4:5], -1
	s_cbranch_scc0 .LBB1_476
; %bb.456:                              ;   in Loop: Header=BB1_82 Depth=1
	s_cmp_gt_u32 s71, 29
	s_cbranch_scc0 .LBB1_466
; %bb.457:                              ;   in Loop: Header=BB1_82 Depth=1
	s_sext_i32_i16 s4, s70
	s_cmp_lt_i32 s4, 31
	s_mov_b64 s[4:5], -1
	s_cbranch_scc1 .LBB1_463
; %bb.458:                              ;   in Loop: Header=BB1_82 Depth=1
	s_cmp_lg_u32 s71, 31
	s_cbranch_scc0 .LBB1_460
; %bb.459:                              ;   in Loop: Header=BB1_82 Depth=1
	s_add_u32 s8, s36, 0x1000
	s_addc_u32 s9, s37, 0
	s_getpc_b64 s[16:17]
	s_add_u32 s16, s16, _Z50ncclDevFunc_Reduce_RING_SIMPLE_MinMax_f8e5m2_0_0_2v@rel32@lo+4
	s_addc_u32 s17, s17, _Z50ncclDevFunc_Reduce_RING_SIMPLE_MinMax_f8e5m2_0_0_2v@rel32@hi+12
	s_mov_b64 s[4:5], s[48:49]
	s_mov_b64 s[6:7], s[38:39]
	;; [unrolled: 1-line block ×3, first 2 shown]
	s_mov_b32 s12, s55
	s_mov_b32 s13, s54
	s_mov_b32 s14, s33
	v_mov_b32_e32 v31, v40
	s_swappc_b64 s[30:31], s[16:17]
	s_mov_b64 s[4:5], 0
.LBB1_460:                              ;   in Loop: Header=BB1_82 Depth=1
	s_andn2_b64 vcc, exec, s[4:5]
	s_cbranch_vccnz .LBB1_462
; %bb.461:                              ;   in Loop: Header=BB1_82 Depth=1
	s_add_u32 s8, s36, 0x1000
	s_addc_u32 s9, s37, 0
	s_getpc_b64 s[16:17]
	s_add_u32 s16, s16, _Z50ncclDevFunc_Reduce_RING_SIMPLE_MinMax_f8e4m3_0_0_2v@rel32@lo+4
	s_addc_u32 s17, s17, _Z50ncclDevFunc_Reduce_RING_SIMPLE_MinMax_f8e4m3_0_0_2v@rel32@hi+12
	s_mov_b64 s[4:5], s[48:49]
	s_mov_b64 s[6:7], s[38:39]
	;; [unrolled: 1-line block ×3, first 2 shown]
	s_mov_b32 s12, s55
	s_mov_b32 s13, s54
	;; [unrolled: 1-line block ×3, first 2 shown]
	v_mov_b32_e32 v31, v40
	s_swappc_b64 s[30:31], s[16:17]
.LBB1_462:                              ;   in Loop: Header=BB1_82 Depth=1
	s_mov_b64 s[4:5], 0
.LBB1_463:                              ;   in Loop: Header=BB1_82 Depth=1
	s_andn2_b64 vcc, exec, s[4:5]
	s_cbranch_vccnz .LBB1_465
; %bb.464:                              ;   in Loop: Header=BB1_82 Depth=1
	s_add_u32 s8, s36, 0x1000
	s_addc_u32 s9, s37, 0
	s_getpc_b64 s[16:17]
	s_add_u32 s16, s16, _Z48ncclDevFunc_Reduce_RING_SIMPLE_MinMax_bf16_0_1_2v@rel32@lo+4
	s_addc_u32 s17, s17, _Z48ncclDevFunc_Reduce_RING_SIMPLE_MinMax_bf16_0_1_2v@rel32@hi+12
	s_mov_b64 s[4:5], s[48:49]
	s_mov_b64 s[6:7], s[38:39]
	;; [unrolled: 1-line block ×3, first 2 shown]
	s_mov_b32 s12, s55
	s_mov_b32 s13, s54
	;; [unrolled: 1-line block ×3, first 2 shown]
	v_mov_b32_e32 v31, v40
	s_swappc_b64 s[30:31], s[16:17]
.LBB1_465:                              ;   in Loop: Header=BB1_82 Depth=1
	s_mov_b64 s[4:5], 0
.LBB1_466:                              ;   in Loop: Header=BB1_82 Depth=1
	s_and_b64 vcc, exec, s[4:5]
	s_cbranch_vccz .LBB1_475
; %bb.467:                              ;   in Loop: Header=BB1_82 Depth=1
	s_sext_i32_i16 s4, s70
	s_cmp_lt_i32 s4, 28
	s_mov_b64 s[4:5], -1
	s_cbranch_scc1 .LBB1_473
; %bb.468:                              ;   in Loop: Header=BB1_82 Depth=1
	s_cmp_lg_u32 s71, 28
	s_cbranch_scc0 .LBB1_470
; %bb.469:                              ;   in Loop: Header=BB1_82 Depth=1
	s_add_u32 s8, s36, 0x1000
	s_addc_u32 s9, s37, 0
	s_getpc_b64 s[16:17]
	s_add_u32 s16, s16, _Z48ncclDevFunc_Reduce_RING_SIMPLE_MinMax_bf16_0_0_2v@rel32@lo+4
	s_addc_u32 s17, s17, _Z48ncclDevFunc_Reduce_RING_SIMPLE_MinMax_bf16_0_0_2v@rel32@hi+12
	s_mov_b64 s[4:5], s[48:49]
	s_mov_b64 s[6:7], s[38:39]
	;; [unrolled: 1-line block ×3, first 2 shown]
	s_mov_b32 s12, s55
	s_mov_b32 s13, s54
	;; [unrolled: 1-line block ×3, first 2 shown]
	v_mov_b32_e32 v31, v40
	s_swappc_b64 s[30:31], s[16:17]
	s_mov_b64 s[4:5], 0
.LBB1_470:                              ;   in Loop: Header=BB1_82 Depth=1
	s_andn2_b64 vcc, exec, s[4:5]
	s_cbranch_vccnz .LBB1_472
; %bb.471:                              ;   in Loop: Header=BB1_82 Depth=1
	s_add_u32 s8, s36, 0x1000
	s_addc_u32 s9, s37, 0
	s_getpc_b64 s[16:17]
	s_add_u32 s16, s16, _Z47ncclDevFunc_Reduce_RING_SIMPLE_MinMax_f64_0_0_2v@rel32@lo+4
	s_addc_u32 s17, s17, _Z47ncclDevFunc_Reduce_RING_SIMPLE_MinMax_f64_0_0_2v@rel32@hi+12
	s_mov_b64 s[4:5], s[48:49]
	s_mov_b64 s[6:7], s[38:39]
	;; [unrolled: 1-line block ×3, first 2 shown]
	s_mov_b32 s12, s55
	s_mov_b32 s13, s54
	s_mov_b32 s14, s33
	v_mov_b32_e32 v31, v40
	s_swappc_b64 s[30:31], s[16:17]
.LBB1_472:                              ;   in Loop: Header=BB1_82 Depth=1
	s_mov_b64 s[4:5], 0
.LBB1_473:                              ;   in Loop: Header=BB1_82 Depth=1
	s_andn2_b64 vcc, exec, s[4:5]
	s_cbranch_vccnz .LBB1_475
; %bb.474:                              ;   in Loop: Header=BB1_82 Depth=1
	s_add_u32 s8, s36, 0x1000
	s_addc_u32 s9, s37, 0
	s_getpc_b64 s[16:17]
	s_add_u32 s16, s16, _Z47ncclDevFunc_Reduce_RING_SIMPLE_MinMax_f32_0_0_2v@rel32@lo+4
	s_addc_u32 s17, s17, _Z47ncclDevFunc_Reduce_RING_SIMPLE_MinMax_f32_0_0_2v@rel32@hi+12
	s_mov_b64 s[4:5], s[48:49]
	s_mov_b64 s[6:7], s[38:39]
	;; [unrolled: 1-line block ×3, first 2 shown]
	s_mov_b32 s12, s55
	s_mov_b32 s13, s54
	;; [unrolled: 1-line block ×3, first 2 shown]
	v_mov_b32_e32 v31, v40
	s_swappc_b64 s[30:31], s[16:17]
.LBB1_475:                              ;   in Loop: Header=BB1_82 Depth=1
	s_mov_b64 s[4:5], 0
.LBB1_476:                              ;   in Loop: Header=BB1_82 Depth=1
	s_andn2_b64 vcc, exec, s[4:5]
	s_cbranch_vccnz .LBB1_492
; %bb.477:                              ;   in Loop: Header=BB1_82 Depth=1
	s_cmp_gt_u32 s71, 23
	s_mov_b64 s[4:5], -1
	s_cbranch_scc0 .LBB1_487
; %bb.478:                              ;   in Loop: Header=BB1_82 Depth=1
	s_sext_i32_i16 s4, s70
	s_cmp_lt_i32 s4, 25
	s_mov_b64 s[4:5], -1
	s_cbranch_scc1 .LBB1_484
; %bb.479:                              ;   in Loop: Header=BB1_82 Depth=1
	s_cmp_lg_u32 s71, 25
	s_cbranch_scc0 .LBB1_481
; %bb.480:                              ;   in Loop: Header=BB1_82 Depth=1
	s_add_u32 s8, s36, 0x1000
	s_addc_u32 s9, s37, 0
	s_getpc_b64 s[16:17]
	s_add_u32 s16, s16, _Z47ncclDevFunc_Reduce_RING_SIMPLE_MinMax_f16_0_0_2v@rel32@lo+4
	s_addc_u32 s17, s17, _Z47ncclDevFunc_Reduce_RING_SIMPLE_MinMax_f16_0_0_2v@rel32@hi+12
	s_mov_b64 s[4:5], s[48:49]
	s_mov_b64 s[6:7], s[38:39]
	;; [unrolled: 1-line block ×3, first 2 shown]
	s_mov_b32 s12, s55
	s_mov_b32 s13, s54
	;; [unrolled: 1-line block ×3, first 2 shown]
	v_mov_b32_e32 v31, v40
	s_swappc_b64 s[30:31], s[16:17]
	s_mov_b64 s[4:5], 0
.LBB1_481:                              ;   in Loop: Header=BB1_82 Depth=1
	s_andn2_b64 vcc, exec, s[4:5]
	s_cbranch_vccnz .LBB1_483
; %bb.482:                              ;   in Loop: Header=BB1_82 Depth=1
	s_add_u32 s8, s36, 0x1000
	s_addc_u32 s9, s37, 0
	s_getpc_b64 s[16:17]
	s_add_u32 s16, s16, _Z47ncclDevFunc_Reduce_RING_SIMPLE_MinMax_u64_0_0_2v@rel32@lo+4
	s_addc_u32 s17, s17, _Z47ncclDevFunc_Reduce_RING_SIMPLE_MinMax_u64_0_0_2v@rel32@hi+12
	s_mov_b64 s[4:5], s[48:49]
	s_mov_b64 s[6:7], s[38:39]
	;; [unrolled: 1-line block ×3, first 2 shown]
	s_mov_b32 s12, s55
	s_mov_b32 s13, s54
	;; [unrolled: 1-line block ×3, first 2 shown]
	v_mov_b32_e32 v31, v40
	s_swappc_b64 s[30:31], s[16:17]
.LBB1_483:                              ;   in Loop: Header=BB1_82 Depth=1
	s_mov_b64 s[4:5], 0
.LBB1_484:                              ;   in Loop: Header=BB1_82 Depth=1
	s_andn2_b64 vcc, exec, s[4:5]
	s_cbranch_vccnz .LBB1_486
; %bb.485:                              ;   in Loop: Header=BB1_82 Depth=1
	s_add_u32 s8, s36, 0x1000
	s_addc_u32 s9, s37, 0
	s_getpc_b64 s[16:17]
	s_add_u32 s16, s16, _Z47ncclDevFunc_Reduce_RING_SIMPLE_MinMax_u32_0_0_2v@rel32@lo+4
	s_addc_u32 s17, s17, _Z47ncclDevFunc_Reduce_RING_SIMPLE_MinMax_u32_0_0_2v@rel32@hi+12
	s_mov_b64 s[4:5], s[48:49]
	s_mov_b64 s[6:7], s[38:39]
	;; [unrolled: 1-line block ×3, first 2 shown]
	s_mov_b32 s12, s55
	s_mov_b32 s13, s54
	;; [unrolled: 1-line block ×3, first 2 shown]
	v_mov_b32_e32 v31, v40
	s_swappc_b64 s[30:31], s[16:17]
.LBB1_486:                              ;   in Loop: Header=BB1_82 Depth=1
	s_mov_b64 s[4:5], 0
.LBB1_487:                              ;   in Loop: Header=BB1_82 Depth=1
	s_and_b64 vcc, exec, s[4:5]
	s_cbranch_vccz .LBB1_492
; %bb.488:                              ;   in Loop: Header=BB1_82 Depth=1
	s_cmp_eq_u32 s71, 23
	s_mov_b64 s[4:5], -1
	s_cbranch_scc1 .LBB1_490
; %bb.489:                              ;   in Loop: Header=BB1_82 Depth=1
	s_add_u32 s8, s36, 0x1000
	s_addc_u32 s9, s37, 0
	s_getpc_b64 s[16:17]
	s_add_u32 s16, s16, _Z48ncclDevFunc_Reduce_RING_SIMPLE_Prod_f8e5m2_0_0_2v@rel32@lo+4
	s_addc_u32 s17, s17, _Z48ncclDevFunc_Reduce_RING_SIMPLE_Prod_f8e5m2_0_0_2v@rel32@hi+12
	s_mov_b64 s[4:5], s[48:49]
	s_mov_b64 s[6:7], s[38:39]
	;; [unrolled: 1-line block ×3, first 2 shown]
	s_mov_b32 s12, s55
	s_mov_b32 s13, s54
	;; [unrolled: 1-line block ×3, first 2 shown]
	v_mov_b32_e32 v31, v40
	s_swappc_b64 s[30:31], s[16:17]
	s_mov_b64 s[4:5], 0
.LBB1_490:                              ;   in Loop: Header=BB1_82 Depth=1
	s_andn2_b64 vcc, exec, s[4:5]
	s_cbranch_vccnz .LBB1_492
; %bb.491:                              ;   in Loop: Header=BB1_82 Depth=1
	s_add_u32 s8, s36, 0x1000
	s_addc_u32 s9, s37, 0
	s_getpc_b64 s[16:17]
	s_add_u32 s16, s16, _Z46ncclDevFunc_Reduce_RING_SIMPLE_MinMax_u8_0_0_2v@rel32@lo+4
	s_addc_u32 s17, s17, _Z46ncclDevFunc_Reduce_RING_SIMPLE_MinMax_u8_0_0_2v@rel32@hi+12
	s_mov_b64 s[4:5], s[48:49]
	s_mov_b64 s[6:7], s[38:39]
	;; [unrolled: 1-line block ×3, first 2 shown]
	s_mov_b32 s12, s55
	s_mov_b32 s13, s54
	;; [unrolled: 1-line block ×3, first 2 shown]
	v_mov_b32_e32 v31, v40
	s_swappc_b64 s[30:31], s[16:17]
.LBB1_492:                              ;   in Loop: Header=BB1_82 Depth=1
	s_mov_b64 s[4:5], 0
.LBB1_493:                              ;   in Loop: Header=BB1_82 Depth=1
	s_andn2_b64 vcc, exec, s[4:5]
	s_cbranch_vccnz .LBB1_568
; %bb.494:                              ;   in Loop: Header=BB1_82 Depth=1
	s_cmp_gt_u32 s71, 10
	s_mov_b64 s[4:5], -1
	s_cbranch_scc0 .LBB1_533
; %bb.495:                              ;   in Loop: Header=BB1_82 Depth=1
	s_cmp_gt_u32 s71, 15
	s_cbranch_scc0 .LBB1_516
; %bb.496:                              ;   in Loop: Header=BB1_82 Depth=1
	s_cmp_gt_u32 s71, 18
	s_cbranch_scc0 .LBB1_506
; %bb.497:                              ;   in Loop: Header=BB1_82 Depth=1
	s_sext_i32_i16 s4, s70
	s_cmp_lt_i32 s4, 20
	s_mov_b64 s[4:5], -1
	s_cbranch_scc1 .LBB1_503
; %bb.498:                              ;   in Loop: Header=BB1_82 Depth=1
	s_cmp_lg_u32 s71, 20
	s_cbranch_scc0 .LBB1_500
; %bb.499:                              ;   in Loop: Header=BB1_82 Depth=1
	s_add_u32 s8, s36, 0x1000
	s_addc_u32 s9, s37, 0
	s_getpc_b64 s[16:17]
	s_add_u32 s16, s16, _Z48ncclDevFunc_Reduce_RING_SIMPLE_Prod_f8e4m3_0_0_2v@rel32@lo+4
	s_addc_u32 s17, s17, _Z48ncclDevFunc_Reduce_RING_SIMPLE_Prod_f8e4m3_0_0_2v@rel32@hi+12
	s_mov_b64 s[4:5], s[48:49]
	s_mov_b64 s[6:7], s[38:39]
	;; [unrolled: 1-line block ×3, first 2 shown]
	s_mov_b32 s12, s55
	s_mov_b32 s13, s54
	;; [unrolled: 1-line block ×3, first 2 shown]
	v_mov_b32_e32 v31, v40
	s_swappc_b64 s[30:31], s[16:17]
	s_mov_b64 s[4:5], 0
.LBB1_500:                              ;   in Loop: Header=BB1_82 Depth=1
	s_andn2_b64 vcc, exec, s[4:5]
	s_cbranch_vccnz .LBB1_502
; %bb.501:                              ;   in Loop: Header=BB1_82 Depth=1
	s_add_u32 s8, s36, 0x1000
	s_addc_u32 s9, s37, 0
	s_getpc_b64 s[16:17]
	s_add_u32 s16, s16, _Z46ncclDevFunc_Reduce_RING_SIMPLE_Prod_bf16_0_1_2v@rel32@lo+4
	s_addc_u32 s17, s17, _Z46ncclDevFunc_Reduce_RING_SIMPLE_Prod_bf16_0_1_2v@rel32@hi+12
	s_mov_b64 s[4:5], s[48:49]
	s_mov_b64 s[6:7], s[38:39]
	;; [unrolled: 1-line block ×3, first 2 shown]
	s_mov_b32 s12, s55
	s_mov_b32 s13, s54
	s_mov_b32 s14, s33
	v_mov_b32_e32 v31, v40
	s_swappc_b64 s[30:31], s[16:17]
.LBB1_502:                              ;   in Loop: Header=BB1_82 Depth=1
	s_mov_b64 s[4:5], 0
.LBB1_503:                              ;   in Loop: Header=BB1_82 Depth=1
	s_andn2_b64 vcc, exec, s[4:5]
	s_cbranch_vccnz .LBB1_505
; %bb.504:                              ;   in Loop: Header=BB1_82 Depth=1
	s_add_u32 s8, s36, 0x1000
	s_addc_u32 s9, s37, 0
	s_getpc_b64 s[16:17]
	s_add_u32 s16, s16, _Z46ncclDevFunc_Reduce_RING_SIMPLE_Prod_bf16_0_0_2v@rel32@lo+4
	s_addc_u32 s17, s17, _Z46ncclDevFunc_Reduce_RING_SIMPLE_Prod_bf16_0_0_2v@rel32@hi+12
	s_mov_b64 s[4:5], s[48:49]
	s_mov_b64 s[6:7], s[38:39]
	;; [unrolled: 1-line block ×3, first 2 shown]
	s_mov_b32 s12, s55
	s_mov_b32 s13, s54
	s_mov_b32 s14, s33
	v_mov_b32_e32 v31, v40
	s_swappc_b64 s[30:31], s[16:17]
.LBB1_505:                              ;   in Loop: Header=BB1_82 Depth=1
	s_mov_b64 s[4:5], 0
.LBB1_506:                              ;   in Loop: Header=BB1_82 Depth=1
	s_and_b64 vcc, exec, s[4:5]
	s_cbranch_vccz .LBB1_515
; %bb.507:                              ;   in Loop: Header=BB1_82 Depth=1
	s_sext_i32_i16 s4, s70
	s_cmp_lt_i32 s4, 17
	s_mov_b64 s[4:5], -1
	s_cbranch_scc1 .LBB1_513
; %bb.508:                              ;   in Loop: Header=BB1_82 Depth=1
	s_cmp_lg_u32 s71, 17
	s_cbranch_scc0 .LBB1_510
; %bb.509:                              ;   in Loop: Header=BB1_82 Depth=1
	s_add_u32 s8, s36, 0x1000
	s_addc_u32 s9, s37, 0
	s_getpc_b64 s[16:17]
	s_add_u32 s16, s16, _Z45ncclDevFunc_Reduce_RING_SIMPLE_Prod_f64_0_0_2v@rel32@lo+4
	s_addc_u32 s17, s17, _Z45ncclDevFunc_Reduce_RING_SIMPLE_Prod_f64_0_0_2v@rel32@hi+12
	s_mov_b64 s[4:5], s[48:49]
	s_mov_b64 s[6:7], s[38:39]
	;; [unrolled: 1-line block ×3, first 2 shown]
	s_mov_b32 s12, s55
	s_mov_b32 s13, s54
	;; [unrolled: 1-line block ×3, first 2 shown]
	v_mov_b32_e32 v31, v40
	s_swappc_b64 s[30:31], s[16:17]
	s_mov_b64 s[4:5], 0
.LBB1_510:                              ;   in Loop: Header=BB1_82 Depth=1
	s_andn2_b64 vcc, exec, s[4:5]
	s_cbranch_vccnz .LBB1_512
; %bb.511:                              ;   in Loop: Header=BB1_82 Depth=1
	s_add_u32 s8, s36, 0x1000
	s_addc_u32 s9, s37, 0
	s_getpc_b64 s[16:17]
	s_add_u32 s16, s16, _Z45ncclDevFunc_Reduce_RING_SIMPLE_Prod_f32_0_0_2v@rel32@lo+4
	s_addc_u32 s17, s17, _Z45ncclDevFunc_Reduce_RING_SIMPLE_Prod_f32_0_0_2v@rel32@hi+12
	s_mov_b64 s[4:5], s[48:49]
	s_mov_b64 s[6:7], s[38:39]
	s_mov_b64 s[10:11], s[34:35]
	s_mov_b32 s12, s55
	s_mov_b32 s13, s54
	s_mov_b32 s14, s33
	v_mov_b32_e32 v31, v40
	s_swappc_b64 s[30:31], s[16:17]
.LBB1_512:                              ;   in Loop: Header=BB1_82 Depth=1
	s_mov_b64 s[4:5], 0
.LBB1_513:                              ;   in Loop: Header=BB1_82 Depth=1
	s_andn2_b64 vcc, exec, s[4:5]
	s_cbranch_vccnz .LBB1_515
; %bb.514:                              ;   in Loop: Header=BB1_82 Depth=1
	s_add_u32 s8, s36, 0x1000
	s_addc_u32 s9, s37, 0
	s_getpc_b64 s[16:17]
	s_add_u32 s16, s16, _Z45ncclDevFunc_Reduce_RING_SIMPLE_Prod_f16_0_0_2v@rel32@lo+4
	s_addc_u32 s17, s17, _Z45ncclDevFunc_Reduce_RING_SIMPLE_Prod_f16_0_0_2v@rel32@hi+12
	s_mov_b64 s[4:5], s[48:49]
	s_mov_b64 s[6:7], s[38:39]
	;; [unrolled: 1-line block ×3, first 2 shown]
	s_mov_b32 s12, s55
	s_mov_b32 s13, s54
	;; [unrolled: 1-line block ×3, first 2 shown]
	v_mov_b32_e32 v31, v40
	s_swappc_b64 s[30:31], s[16:17]
.LBB1_515:                              ;   in Loop: Header=BB1_82 Depth=1
	s_mov_b64 s[4:5], 0
.LBB1_516:                              ;   in Loop: Header=BB1_82 Depth=1
	s_andn2_b64 vcc, exec, s[4:5]
	s_cbranch_vccnz .LBB1_532
; %bb.517:                              ;   in Loop: Header=BB1_82 Depth=1
	s_cmp_gt_u32 s71, 12
	s_mov_b64 s[4:5], -1
	s_cbranch_scc0 .LBB1_527
; %bb.518:                              ;   in Loop: Header=BB1_82 Depth=1
	s_sext_i32_i16 s4, s70
	s_cmp_lt_i32 s4, 14
	s_mov_b64 s[4:5], -1
	s_cbranch_scc1 .LBB1_524
; %bb.519:                              ;   in Loop: Header=BB1_82 Depth=1
	s_cmp_lg_u32 s71, 14
	s_cbranch_scc0 .LBB1_521
; %bb.520:                              ;   in Loop: Header=BB1_82 Depth=1
	s_add_u32 s8, s36, 0x1000
	s_addc_u32 s9, s37, 0
	s_getpc_b64 s[16:17]
	s_add_u32 s16, s16, _Z45ncclDevFunc_Reduce_RING_SIMPLE_Prod_u64_0_0_2v@rel32@lo+4
	s_addc_u32 s17, s17, _Z45ncclDevFunc_Reduce_RING_SIMPLE_Prod_u64_0_0_2v@rel32@hi+12
	s_mov_b64 s[4:5], s[48:49]
	s_mov_b64 s[6:7], s[38:39]
	;; [unrolled: 1-line block ×3, first 2 shown]
	s_mov_b32 s12, s55
	s_mov_b32 s13, s54
	;; [unrolled: 1-line block ×3, first 2 shown]
	v_mov_b32_e32 v31, v40
	s_swappc_b64 s[30:31], s[16:17]
	s_mov_b64 s[4:5], 0
.LBB1_521:                              ;   in Loop: Header=BB1_82 Depth=1
	s_andn2_b64 vcc, exec, s[4:5]
	s_cbranch_vccnz .LBB1_523
; %bb.522:                              ;   in Loop: Header=BB1_82 Depth=1
	s_add_u32 s8, s36, 0x1000
	s_addc_u32 s9, s37, 0
	s_getpc_b64 s[16:17]
	s_add_u32 s16, s16, _Z45ncclDevFunc_Reduce_RING_SIMPLE_Prod_u32_0_0_2v@rel32@lo+4
	s_addc_u32 s17, s17, _Z45ncclDevFunc_Reduce_RING_SIMPLE_Prod_u32_0_0_2v@rel32@hi+12
	s_mov_b64 s[4:5], s[48:49]
	s_mov_b64 s[6:7], s[38:39]
	s_mov_b64 s[10:11], s[34:35]
	s_mov_b32 s12, s55
	s_mov_b32 s13, s54
	;; [unrolled: 1-line block ×3, first 2 shown]
	v_mov_b32_e32 v31, v40
	s_swappc_b64 s[30:31], s[16:17]
.LBB1_523:                              ;   in Loop: Header=BB1_82 Depth=1
	s_mov_b64 s[4:5], 0
.LBB1_524:                              ;   in Loop: Header=BB1_82 Depth=1
	s_andn2_b64 vcc, exec, s[4:5]
	s_cbranch_vccnz .LBB1_526
; %bb.525:                              ;   in Loop: Header=BB1_82 Depth=1
	s_add_u32 s8, s36, 0x1000
	s_addc_u32 s9, s37, 0
	s_getpc_b64 s[16:17]
	s_add_u32 s16, s16, _Z44ncclDevFunc_Reduce_RING_SIMPLE_Prod_u8_0_0_2v@rel32@lo+4
	s_addc_u32 s17, s17, _Z44ncclDevFunc_Reduce_RING_SIMPLE_Prod_u8_0_0_2v@rel32@hi+12
	s_mov_b64 s[4:5], s[48:49]
	s_mov_b64 s[6:7], s[38:39]
	;; [unrolled: 1-line block ×3, first 2 shown]
	s_mov_b32 s12, s55
	s_mov_b32 s13, s54
	;; [unrolled: 1-line block ×3, first 2 shown]
	v_mov_b32_e32 v31, v40
	s_swappc_b64 s[30:31], s[16:17]
.LBB1_526:                              ;   in Loop: Header=BB1_82 Depth=1
	s_mov_b64 s[4:5], 0
.LBB1_527:                              ;   in Loop: Header=BB1_82 Depth=1
	s_and_b64 vcc, exec, s[4:5]
	s_cbranch_vccz .LBB1_532
; %bb.528:                              ;   in Loop: Header=BB1_82 Depth=1
	s_cmp_eq_u32 s71, 12
	s_mov_b64 s[4:5], -1
	s_cbranch_scc1 .LBB1_530
; %bb.529:                              ;   in Loop: Header=BB1_82 Depth=1
	s_add_u32 s8, s36, 0x1000
	s_addc_u32 s9, s37, 0
	s_getpc_b64 s[16:17]
	s_add_u32 s16, s16, _Z47ncclDevFunc_Reduce_RING_SIMPLE_Sum_f8e4m3_0_0_2v@rel32@lo+4
	s_addc_u32 s17, s17, _Z47ncclDevFunc_Reduce_RING_SIMPLE_Sum_f8e4m3_0_0_2v@rel32@hi+12
	s_mov_b64 s[4:5], s[48:49]
	s_mov_b64 s[6:7], s[38:39]
	s_mov_b64 s[10:11], s[34:35]
	s_mov_b32 s12, s55
	s_mov_b32 s13, s54
	;; [unrolled: 1-line block ×3, first 2 shown]
	v_mov_b32_e32 v31, v40
	s_swappc_b64 s[30:31], s[16:17]
	s_mov_b64 s[4:5], 0
.LBB1_530:                              ;   in Loop: Header=BB1_82 Depth=1
	s_andn2_b64 vcc, exec, s[4:5]
	s_cbranch_vccnz .LBB1_532
; %bb.531:                              ;   in Loop: Header=BB1_82 Depth=1
	s_add_u32 s8, s36, 0x1000
	s_addc_u32 s9, s37, 0
	s_getpc_b64 s[16:17]
	s_add_u32 s16, s16, _Z47ncclDevFunc_Reduce_RING_SIMPLE_Sum_f8e5m2_0_0_2v@rel32@lo+4
	s_addc_u32 s17, s17, _Z47ncclDevFunc_Reduce_RING_SIMPLE_Sum_f8e5m2_0_0_2v@rel32@hi+12
	s_mov_b64 s[4:5], s[48:49]
	s_mov_b64 s[6:7], s[38:39]
	;; [unrolled: 1-line block ×3, first 2 shown]
	s_mov_b32 s12, s55
	s_mov_b32 s13, s54
	;; [unrolled: 1-line block ×3, first 2 shown]
	v_mov_b32_e32 v31, v40
	s_swappc_b64 s[30:31], s[16:17]
.LBB1_532:                              ;   in Loop: Header=BB1_82 Depth=1
	s_mov_b64 s[4:5], 0
.LBB1_533:                              ;   in Loop: Header=BB1_82 Depth=1
	s_andn2_b64 vcc, exec, s[4:5]
	s_cbranch_vccnz .LBB1_568
; %bb.534:                              ;   in Loop: Header=BB1_82 Depth=1
	s_cmp_gt_u32 s71, 4
	s_mov_b64 s[4:5], -1
	s_cbranch_scc0 .LBB1_555
; %bb.535:                              ;   in Loop: Header=BB1_82 Depth=1
	s_cmp_gt_u32 s71, 7
	s_cbranch_scc0 .LBB1_545
; %bb.536:                              ;   in Loop: Header=BB1_82 Depth=1
	s_sext_i32_i16 s4, s70
	s_cmp_lt_i32 s4, 9
	s_mov_b64 s[4:5], -1
	s_cbranch_scc1 .LBB1_542
; %bb.537:                              ;   in Loop: Header=BB1_82 Depth=1
	s_cmp_lg_u32 s71, 9
	s_cbranch_scc0 .LBB1_539
; %bb.538:                              ;   in Loop: Header=BB1_82 Depth=1
	s_add_u32 s8, s36, 0x1000
	s_addc_u32 s9, s37, 0
	s_getpc_b64 s[16:17]
	s_add_u32 s16, s16, _Z45ncclDevFunc_Reduce_RING_SIMPLE_Sum_bf16_0_1_2v@rel32@lo+4
	s_addc_u32 s17, s17, _Z45ncclDevFunc_Reduce_RING_SIMPLE_Sum_bf16_0_1_2v@rel32@hi+12
	s_mov_b64 s[4:5], s[48:49]
	s_mov_b64 s[6:7], s[38:39]
	;; [unrolled: 1-line block ×3, first 2 shown]
	s_mov_b32 s12, s55
	s_mov_b32 s13, s54
	;; [unrolled: 1-line block ×3, first 2 shown]
	v_mov_b32_e32 v31, v40
	s_swappc_b64 s[30:31], s[16:17]
	s_mov_b64 s[4:5], 0
.LBB1_539:                              ;   in Loop: Header=BB1_82 Depth=1
	s_andn2_b64 vcc, exec, s[4:5]
	s_cbranch_vccnz .LBB1_541
; %bb.540:                              ;   in Loop: Header=BB1_82 Depth=1
	s_add_u32 s8, s36, 0x1000
	s_addc_u32 s9, s37, 0
	s_getpc_b64 s[16:17]
	s_add_u32 s16, s16, _Z45ncclDevFunc_Reduce_RING_SIMPLE_Sum_bf16_0_0_2v@rel32@lo+4
	s_addc_u32 s17, s17, _Z45ncclDevFunc_Reduce_RING_SIMPLE_Sum_bf16_0_0_2v@rel32@hi+12
	s_mov_b64 s[4:5], s[48:49]
	s_mov_b64 s[6:7], s[38:39]
	;; [unrolled: 1-line block ×3, first 2 shown]
	s_mov_b32 s12, s55
	s_mov_b32 s13, s54
	;; [unrolled: 1-line block ×3, first 2 shown]
	v_mov_b32_e32 v31, v40
	s_swappc_b64 s[30:31], s[16:17]
.LBB1_541:                              ;   in Loop: Header=BB1_82 Depth=1
	s_mov_b64 s[4:5], 0
.LBB1_542:                              ;   in Loop: Header=BB1_82 Depth=1
	s_andn2_b64 vcc, exec, s[4:5]
	s_cbranch_vccnz .LBB1_544
; %bb.543:                              ;   in Loop: Header=BB1_82 Depth=1
	s_add_u32 s8, s36, 0x1000
	s_addc_u32 s9, s37, 0
	s_getpc_b64 s[16:17]
	s_add_u32 s16, s16, _Z44ncclDevFunc_Reduce_RING_SIMPLE_Sum_f64_0_0_2v@rel32@lo+4
	s_addc_u32 s17, s17, _Z44ncclDevFunc_Reduce_RING_SIMPLE_Sum_f64_0_0_2v@rel32@hi+12
	s_mov_b64 s[4:5], s[48:49]
	s_mov_b64 s[6:7], s[38:39]
	;; [unrolled: 1-line block ×3, first 2 shown]
	s_mov_b32 s12, s55
	s_mov_b32 s13, s54
	;; [unrolled: 1-line block ×3, first 2 shown]
	v_mov_b32_e32 v31, v40
	s_swappc_b64 s[30:31], s[16:17]
.LBB1_544:                              ;   in Loop: Header=BB1_82 Depth=1
	s_mov_b64 s[4:5], 0
.LBB1_545:                              ;   in Loop: Header=BB1_82 Depth=1
	s_and_b64 vcc, exec, s[4:5]
	s_cbranch_vccz .LBB1_554
; %bb.546:                              ;   in Loop: Header=BB1_82 Depth=1
	s_sext_i32_i16 s4, s70
	s_cmp_lt_i32 s4, 6
	s_mov_b64 s[4:5], -1
	s_cbranch_scc1 .LBB1_552
; %bb.547:                              ;   in Loop: Header=BB1_82 Depth=1
	s_cmp_lg_u32 s71, 6
	s_cbranch_scc0 .LBB1_549
; %bb.548:                              ;   in Loop: Header=BB1_82 Depth=1
	s_add_u32 s8, s36, 0x1000
	s_addc_u32 s9, s37, 0
	s_getpc_b64 s[16:17]
	s_add_u32 s16, s16, _Z44ncclDevFunc_Reduce_RING_SIMPLE_Sum_f32_0_0_2v@rel32@lo+4
	s_addc_u32 s17, s17, _Z44ncclDevFunc_Reduce_RING_SIMPLE_Sum_f32_0_0_2v@rel32@hi+12
	s_mov_b64 s[4:5], s[48:49]
	s_mov_b64 s[6:7], s[38:39]
	;; [unrolled: 1-line block ×3, first 2 shown]
	s_mov_b32 s12, s55
	s_mov_b32 s13, s54
	;; [unrolled: 1-line block ×3, first 2 shown]
	v_mov_b32_e32 v31, v40
	s_swappc_b64 s[30:31], s[16:17]
	s_mov_b64 s[4:5], 0
.LBB1_549:                              ;   in Loop: Header=BB1_82 Depth=1
	s_andn2_b64 vcc, exec, s[4:5]
	s_cbranch_vccnz .LBB1_551
; %bb.550:                              ;   in Loop: Header=BB1_82 Depth=1
	s_add_u32 s8, s36, 0x1000
	s_addc_u32 s9, s37, 0
	s_getpc_b64 s[16:17]
	s_add_u32 s16, s16, _Z44ncclDevFunc_Reduce_RING_SIMPLE_Sum_f16_0_0_2v@rel32@lo+4
	s_addc_u32 s17, s17, _Z44ncclDevFunc_Reduce_RING_SIMPLE_Sum_f16_0_0_2v@rel32@hi+12
	s_mov_b64 s[4:5], s[48:49]
	s_mov_b64 s[6:7], s[38:39]
	;; [unrolled: 1-line block ×3, first 2 shown]
	s_mov_b32 s12, s55
	s_mov_b32 s13, s54
	;; [unrolled: 1-line block ×3, first 2 shown]
	v_mov_b32_e32 v31, v40
	s_swappc_b64 s[30:31], s[16:17]
.LBB1_551:                              ;   in Loop: Header=BB1_82 Depth=1
	s_mov_b64 s[4:5], 0
.LBB1_552:                              ;   in Loop: Header=BB1_82 Depth=1
	s_andn2_b64 vcc, exec, s[4:5]
	s_cbranch_vccnz .LBB1_554
; %bb.553:                              ;   in Loop: Header=BB1_82 Depth=1
	s_add_u32 s8, s36, 0x1000
	s_addc_u32 s9, s37, 0
	s_getpc_b64 s[16:17]
	s_add_u32 s16, s16, _Z44ncclDevFunc_Reduce_RING_SIMPLE_Sum_u64_0_0_2v@rel32@lo+4
	s_addc_u32 s17, s17, _Z44ncclDevFunc_Reduce_RING_SIMPLE_Sum_u64_0_0_2v@rel32@hi+12
	s_mov_b64 s[4:5], s[48:49]
	s_mov_b64 s[6:7], s[38:39]
	;; [unrolled: 1-line block ×3, first 2 shown]
	s_mov_b32 s12, s55
	s_mov_b32 s13, s54
	;; [unrolled: 1-line block ×3, first 2 shown]
	v_mov_b32_e32 v31, v40
	s_swappc_b64 s[30:31], s[16:17]
.LBB1_554:                              ;   in Loop: Header=BB1_82 Depth=1
	s_mov_b64 s[4:5], 0
.LBB1_555:                              ;   in Loop: Header=BB1_82 Depth=1
	s_andn2_b64 vcc, exec, s[4:5]
	s_cbranch_vccnz .LBB1_568
; %bb.556:                              ;   in Loop: Header=BB1_82 Depth=1
	s_cmp_gt_u32 s71, 1
	s_mov_b64 s[4:5], -1
	s_cbranch_scc0 .LBB1_566
; %bb.557:                              ;   in Loop: Header=BB1_82 Depth=1
	s_sext_i32_i16 s4, s70
	s_cmp_lt_i32 s4, 3
	s_mov_b64 s[4:5], -1
	s_cbranch_scc1 .LBB1_563
; %bb.558:                              ;   in Loop: Header=BB1_82 Depth=1
	s_cmp_lg_u32 s71, 3
	s_cbranch_scc0 .LBB1_560
; %bb.559:                              ;   in Loop: Header=BB1_82 Depth=1
	s_add_u32 s8, s36, 0x1000
	s_addc_u32 s9, s37, 0
	s_getpc_b64 s[16:17]
	s_add_u32 s16, s16, _Z44ncclDevFunc_Reduce_RING_SIMPLE_Sum_u32_0_0_2v@rel32@lo+4
	s_addc_u32 s17, s17, _Z44ncclDevFunc_Reduce_RING_SIMPLE_Sum_u32_0_0_2v@rel32@hi+12
	s_mov_b64 s[4:5], s[48:49]
	s_mov_b64 s[6:7], s[38:39]
	;; [unrolled: 1-line block ×3, first 2 shown]
	s_mov_b32 s12, s55
	s_mov_b32 s13, s54
	;; [unrolled: 1-line block ×3, first 2 shown]
	v_mov_b32_e32 v31, v40
	s_swappc_b64 s[30:31], s[16:17]
	s_mov_b64 s[4:5], 0
.LBB1_560:                              ;   in Loop: Header=BB1_82 Depth=1
	s_andn2_b64 vcc, exec, s[4:5]
	s_cbranch_vccnz .LBB1_562
; %bb.561:                              ;   in Loop: Header=BB1_82 Depth=1
	s_add_u32 s8, s36, 0x1000
	s_addc_u32 s9, s37, 0
	s_getpc_b64 s[16:17]
	s_add_u32 s16, s16, _Z43ncclDevFunc_Reduce_RING_SIMPLE_Sum_u8_0_0_2v@rel32@lo+4
	s_addc_u32 s17, s17, _Z43ncclDevFunc_Reduce_RING_SIMPLE_Sum_u8_0_0_2v@rel32@hi+12
	s_mov_b64 s[4:5], s[48:49]
	s_mov_b64 s[6:7], s[38:39]
	;; [unrolled: 1-line block ×3, first 2 shown]
	s_mov_b32 s12, s55
	s_mov_b32 s13, s54
	s_mov_b32 s14, s33
	v_mov_b32_e32 v31, v40
	s_swappc_b64 s[30:31], s[16:17]
.LBB1_562:                              ;   in Loop: Header=BB1_82 Depth=1
	s_mov_b64 s[4:5], 0
.LBB1_563:                              ;   in Loop: Header=BB1_82 Depth=1
	s_andn2_b64 vcc, exec, s[4:5]
	s_cbranch_vccnz .LBB1_565
; %bb.564:                              ;   in Loop: Header=BB1_82 Depth=1
	s_add_u32 s8, s36, 0x1000
	s_addc_u32 s9, s37, 0
	s_getpc_b64 s[16:17]
	s_add_u32 s16, s16, _Z46ncclDevFunc_Broadcast_RING_SIMPLE_Sum_i8_0_0_2v@rel32@lo+4
	s_addc_u32 s17, s17, _Z46ncclDevFunc_Broadcast_RING_SIMPLE_Sum_i8_0_0_2v@rel32@hi+12
	s_mov_b64 s[4:5], s[48:49]
	s_mov_b64 s[6:7], s[38:39]
	;; [unrolled: 1-line block ×3, first 2 shown]
	s_mov_b32 s12, s55
	s_mov_b32 s13, s54
	s_mov_b32 s14, s33
	v_mov_b32_e32 v31, v40
	s_swappc_b64 s[30:31], s[16:17]
.LBB1_565:                              ;   in Loop: Header=BB1_82 Depth=1
	s_mov_b64 s[4:5], 0
.LBB1_566:                              ;   in Loop: Header=BB1_82 Depth=1
	s_and_b64 vcc, exec, s[4:5]
	s_cbranch_vccz .LBB1_568
; %bb.567:                              ;   in Loop: Header=BB1_82 Depth=1
	s_add_u32 s8, s36, 0x1000
	s_addc_u32 s9, s37, 0
	s_getpc_b64 s[16:17]
	s_add_u32 s16, s16, _Z42ncclDevFunc_Broadcast_RING_LL_Sum_i8_0_0_2v@rel32@lo+4
	s_addc_u32 s17, s17, _Z42ncclDevFunc_Broadcast_RING_LL_Sum_i8_0_0_2v@rel32@hi+12
	s_mov_b64 s[4:5], s[48:49]
	s_mov_b64 s[6:7], s[38:39]
	;; [unrolled: 1-line block ×3, first 2 shown]
	s_mov_b32 s12, s55
	s_mov_b32 s13, s54
	;; [unrolled: 1-line block ×3, first 2 shown]
	v_mov_b32_e32 v31, v40
	s_swappc_b64 s[30:31], s[16:17]
.LBB1_568:                              ;   in Loop: Header=BB1_82 Depth=1
	ds_read_b32 v0, v41 offset:16996
	s_waitcnt lgkmcnt(0)
	v_cmp_eq_u32_e32 vcc, -1, v0
	v_readfirstlane_b32 s12, v0
	s_cbranch_vccnz .LBB1_583
; %bb.569:                              ;   in Loop: Header=BB1_82 Depth=1
	s_waitcnt vmcnt(0)
	s_barrier
	s_and_saveexec_b64 s[4:5], s[64:65]
	s_cbranch_execz .LBB1_573
; %bb.570:                              ;   in Loop: Header=BB1_82 Depth=1
	s_and_saveexec_b64 s[6:7], s[52:53]
; %bb.571:                              ;   in Loop: Header=BB1_82 Depth=1
	v_mov_b32_e32 v42, v41
	ds_write_b64 v41, v[41:42] offset:19736
; %bb.572:                              ;   in Loop: Header=BB1_82 Depth=1
	s_or_b64 exec, exec, s[6:7]
	v_mov_b32_e32 v42, v41
	ds_write_b64 v45, v[41:42]
.LBB1_573:                              ;   in Loop: Header=BB1_82 Depth=1
	s_or_b64 exec, exec, s[4:5]
	s_and_saveexec_b64 s[4:5], s[50:51]
	s_cbranch_execz .LBB1_585
; %bb.574:                              ;   in Loop: Header=BB1_82 Depth=1
	ds_read_b64 v[2:3], v41 offset:16976
	ds_read_b32 v6, v41 offset:17004
	s_waitcnt lgkmcnt(1)
	v_add_co_u32_e32 v0, vcc, 1, v2
	v_addc_co_u32_e32 v1, vcc, 0, v3, vcc
	s_waitcnt lgkmcnt(0)
	v_ashrrev_i32_e32 v5, 31, v6
	v_add_co_u32_e32 v4, vcc, v2, v6
	v_addc_co_u32_e32 v5, vcc, v3, v5, vcc
	v_cmp_gt_u64_e32 vcc, v[0:1], v[4:5]
	s_cbranch_vccnz .LBB1_584
; %bb.575:                              ;   in Loop: Header=BB1_82 Depth=1
	ds_read_u8 v7, v41 offset:17000
	s_movk_i32 s8, 0x494e
	s_movk_i32 s9, 0x491a
	s_branch .LBB1_577
.LBB1_576:                              ;   in Loop: Header=BB1_577 Depth=2
	v_add_co_u32_e32 v0, vcc, 1, v0
	v_addc_co_u32_e32 v1, vcc, 0, v1, vcc
	s_waitcnt lgkmcnt(0)
	v_ashrrev_i32_e32 v5, 31, v6
	v_add_co_u32_e32 v4, vcc, v2, v6
	v_addc_co_u32_e32 v5, vcc, v3, v5, vcc
	v_cmp_le_u64_e32 vcc, v[0:1], v[4:5]
	s_add_i32 s8, s8, 64
	s_addk_i32 s9, 0x80
	s_cbranch_vccz .LBB1_584
.LBB1_577:                              ;   Parent Loop BB1_82 Depth=1
                                        ; =>  This Inner Loop Header: Depth=2
	s_waitcnt lgkmcnt(0)
	v_cmp_ne_u32_sdwa s[6:7], v7, v41 src0_sel:BYTE_0 src1_sel:DWORD
	s_and_b64 vcc, exec, s[6:7]
	s_cbranch_vccz .LBB1_582
; %bb.578:                              ;   in Loop: Header=BB1_577 Depth=2
	v_mov_b32_e32 v4, s9
	ds_read_u8 v4, v4
	s_waitcnt lgkmcnt(0)
	v_and_b32_e32 v4, 1, v4
	s_cbranch_execnz .LBB1_580
.LBB1_579:                              ;   in Loop: Header=BB1_577 Depth=2
	v_mov_b32_e32 v4, s8
	ds_read_u16 v4, v4
	s_waitcnt lgkmcnt(0)
	v_bfe_u32 v4, v4, 6, 1
.LBB1_580:                              ;   in Loop: Header=BB1_577 Depth=2
	v_cmp_eq_u32_e32 vcc, 0, v4
	s_cbranch_vccnz .LBB1_576
; %bb.581:                              ;   in Loop: Header=BB1_577 Depth=2
	s_memrealtime s[6:7]
	ds_read_u8 v7, v41 offset:17000
	ds_read_b32 v2, v41 offset:16496
	ds_read_b64 v[4:5], v41 offset:16600
	s_waitcnt lgkmcnt(0)
	v_ashrrev_i32_e32 v3, 31, v2
	v_lshlrev_b64 v[2:3], 10, v[2:3]
	v_add_co_u32_e32 v2, vcc, v4, v2
	v_and_b32_e32 v4, 63, v0
	v_addc_co_u32_e32 v3, vcc, v5, v3, vcc
	v_lshlrev_b32_e32 v4, 4, v4
	v_add_co_u32_e32 v4, vcc, v2, v4
	v_addc_co_u32_e32 v5, vcc, 0, v3, vcc
	v_mov_b32_e32 v2, s6
	v_mov_b32_e32 v3, s7
	flat_store_dwordx4 v[4:5], v[0:3]
	ds_read_b64 v[2:3], v41 offset:16976
	ds_read_b32 v6, v41 offset:17004
	s_branch .LBB1_576
.LBB1_582:                              ;   in Loop: Header=BB1_577 Depth=2
                                        ; implicit-def: $vgpr4
	s_branch .LBB1_579
.LBB1_583:                              ;   in Loop: Header=BB1_82 Depth=1
	s_cbranch_execz .LBB1_82
	s_branch .LBB1_68
.LBB1_584:                              ;   in Loop: Header=BB1_82 Depth=1
	ds_write_b64 v41, v[4:5] offset:16976
.LBB1_585:                              ;   in Loop: Header=BB1_82 Depth=1
	s_or_b64 exec, exec, s[4:5]
	s_mov_b32 s16, 0
	v_mov_b32_e32 v9, v46
                                        ; implicit-def: $vgpr0_vgpr1_vgpr2_vgpr3
	s_branch .LBB1_588
.LBB1_586:                              ;   in Loop: Header=BB1_588 Depth=2
	s_or_b64 exec, exec, s[10:11]
	s_mov_b32 s9, s12
	v_mov_b32_e32 v4, v9
.LBB1_587:                              ;   in Loop: Header=BB1_588 Depth=2
	s_andn2_b64 vcc, exec, s[6:7]
	s_mov_b32 s12, s9
	v_mov_b32_e32 v9, v4
	s_cbranch_vccz .LBB1_81
.LBB1_588:                              ;   Parent Loop BB1_82 Depth=1
                                        ; =>  This Inner Loop Header: Depth=2
	s_ashr_i32 s13, s12, 31
	s_lshl_b64 s[4:5], s[12:13], 4
	s_add_u32 s4, s36, s4
	s_addc_u32 s5, s37, s5
	s_load_dwordx4 s[8:11], s[4:5], 0x30
	s_waitcnt lgkmcnt(0)
	v_and_b32_e32 v5, s11, v44
	v_and_b32_e32 v4, s10, v43
	v_cmp_ne_u64_e32 vcc, 0, v[4:5]
	s_and_saveexec_b64 s[4:5], vcc
	s_cbranch_execz .LBB1_590
; %bb.589:                              ;   in Loop: Header=BB1_588 Depth=2
	v_and_b32_e32 v5, s10, v56
	v_and_b32_e32 v4, s11, v57
	v_bcnt_u32_b32 v5, v5, 0
	v_bcnt_u32_b32 v4, v4, v5
	v_add_u32_e32 v4, v47, v4
	ds_write_b8 v4, v46
.LBB1_590:                              ;   in Loop: Header=BB1_588 Depth=2
	s_or_b64 exec, exec, s[4:5]
	s_bcnt1_i32_b64 s17, s[10:11]
	s_bfe_u32 s13, s8, 0x2000f
	s_cmp_lt_i32 s13, 1
	s_mov_b64 s[4:5], -1
                                        ; implicit-def: $vgpr10
                                        ; implicit-def: $vgpr11
                                        ; implicit-def: $vgpr4
                                        ; implicit-def: $vgpr12
	s_cbranch_scc1 .LBB1_598
; %bb.591:                              ;   in Loop: Header=BB1_588 Depth=2
	s_cmp_lg_u32 s13, 1
                                        ; implicit-def: $vgpr10
                                        ; implicit-def: $vgpr11
                                        ; implicit-def: $vgpr4
	s_cbranch_scc0 .LBB1_593
; %bb.592:                              ;   in Loop: Header=BB1_588 Depth=2
	v_mul_hi_i32 v4, v9, s68
	s_mov_b64 s[4:5], 0
	v_lshrrev_b32_e32 v5, 31, v4
	v_ashrrev_i32_e32 v4, 3, v4
	v_add_u32_e32 v10, v4, v5
	v_mul_lo_u32 v5, v10, 20
	v_mul_u32_u24_e64 v4, s17, 20
	v_sub_u32_e32 v11, v9, v5
.LBB1_593:                              ;   in Loop: Header=BB1_588 Depth=2
	s_andn2_b64 vcc, exec, s[4:5]
	s_movk_i32 s6, 0x140
	s_cbranch_vccnz .LBB1_595
; %bb.594:                              ;   in Loop: Header=BB1_588 Depth=2
	v_ashrrev_i32_e32 v4, 31, v9
	v_lshrrev_b32_e32 v4, 29, v4
	v_add_u32_e32 v4, v9, v4
	s_lshl_b32 s4, s17, 3
	v_ashrrev_i32_e32 v10, 3, v4
	v_and_b32_e32 v4, -8, v4
	v_sub_u32_e32 v11, v9, v4
	s_movk_i32 s6, 0x80
	v_mov_b32_e32 v4, s4
.LBB1_595:                              ;   in Loop: Header=BB1_588 Depth=2
	v_mov_b32_e32 v12, s6
	s_cbranch_execz .LBB1_599
.LBB1_596:                              ;   in Loop: Header=BB1_588 Depth=2
	v_cmp_eq_u32_e64 s[4:5], 0, v9
	s_and_saveexec_b64 s[6:7], s[4:5]
	s_cbranch_execz .LBB1_600
.LBB1_597:                              ;   in Loop: Header=BB1_588 Depth=2
	ds_write_b32 v41, v12 offset:17008
	s_or_b64 exec, exec, s[6:7]
	v_cmp_lt_i32_e32 vcc, v9, v4
	s_and_saveexec_b64 s[10:11], vcc
	s_cbranch_execz .LBB1_608
	s_branch .LBB1_601
.LBB1_598:                              ;   in Loop: Header=BB1_588 Depth=2
	s_andn2_b64 vcc, exec, s[4:5]
	s_cbranch_vccnz .LBB1_596
.LBB1_599:                              ;   in Loop: Header=BB1_588 Depth=2
	v_ashrrev_i32_e32 v4, 31, v9
	v_lshrrev_b32_e32 v4, 30, v4
	v_add_u32_e32 v4, v9, v4
	s_lshl_b32 s4, s17, 2
	v_ashrrev_i32_e32 v10, 2, v4
	v_and_b32_e32 v4, -4, v4
	v_sub_u32_e32 v11, v9, v4
	v_mov_b32_e32 v12, 64
	v_mov_b32_e32 v4, s4
	v_cmp_eq_u32_e64 s[4:5], 0, v9
	s_and_saveexec_b64 s[6:7], s[4:5]
	s_cbranch_execnz .LBB1_597
.LBB1_600:                              ;   in Loop: Header=BB1_588 Depth=2
	s_or_b64 exec, exec, s[6:7]
	v_cmp_lt_i32_e32 vcc, v9, v4
	s_and_saveexec_b64 s[10:11], vcc
	s_cbranch_execz .LBB1_608
.LBB1_601:                              ;   in Loop: Header=BB1_588 Depth=2
	ds_read_u8 v4, v41 offset:16472
	v_add_u32_e32 v5, v47, v10
	ds_read_u8 v14, v5
	v_lshlrev_b32_e32 v13, 4, v11
	s_waitcnt lgkmcnt(0)
	v_cmp_ne_u32_e64 s[6:7], 0, v4
	s_and_b64 vcc, exec, s[6:7]
	s_cbranch_vccz .LBB1_604
; %bb.602:                              ;   in Loop: Header=BB1_588 Depth=2
	s_mov_b64 s[14:15], -1
	s_and_b64 vcc, exec, s[6:7]
                                        ; implicit-def: $vgpr4_vgpr5_vgpr6_vgpr7
                                        ; implicit-def: $vgpr8
	s_cbranch_vccz .LBB1_605
.LBB1_603:                              ;   in Loop: Header=BB1_588 Depth=2
	ds_read_b32 v6, v41 offset:16476
	ds_read_b64 v[4:5], v41 offset:16480
	v_mul_u32_u24_e32 v7, v12, v14
	v_lshlrev_b32_e32 v8, 4, v11
	v_add3_u32 v7, v8, s9, v7
	s_waitcnt lgkmcnt(0)
	v_and_b32_e32 v6, v6, v7
	v_add_co_u32_e32 v4, vcc, v4, v6
	v_addc_co_u32_e32 v5, vcc, 0, v5, vcc
	flat_load_dwordx4 v[4:7], v[4:5]
	s_cbranch_execz .LBB1_606
	s_branch .LBB1_607
.LBB1_604:                              ;   in Loop: Header=BB1_588 Depth=2
	v_lshlrev_b32_e32 v0, 4, v11
	v_mul_u32_u24_e32 v1, v12, v14
	v_add3_u32 v0, v0, s9, v1
	global_load_dwordx4 v[0:3], v0, s[36:37]
	s_mov_b64 s[14:15], -1
	s_and_b64 vcc, exec, s[6:7]
                                        ; implicit-def: $vgpr4_vgpr5_vgpr6_vgpr7
                                        ; implicit-def: $vgpr8
	s_cbranch_vccnz .LBB1_603
.LBB1_605:                              ;   in Loop: Header=BB1_588 Depth=2
	s_andn2_b64 vcc, exec, s[14:15]
	s_cbranch_vccnz .LBB1_607
.LBB1_606:                              ;   in Loop: Header=BB1_588 Depth=2
	s_waitcnt vmcnt(0) lgkmcnt(0)
	v_mov_b32_e32 v7, v3
	v_mov_b32_e32 v8, v13
	;; [unrolled: 1-line block ×5, first 2 shown]
.LBB1_607:                              ;   in Loop: Header=BB1_588 Depth=2
	s_waitcnt vmcnt(0)
	v_add_u32_e32 v0, s16, v10
	v_mad_u64_u32 v[0:1], s[6:7], v0, v12, v[8:9]
	s_waitcnt lgkmcnt(0)
	ds_write_b128 v0, v[4:7] offset:18704
	v_mov_b32_e32 v0, v4
	v_mov_b32_e32 v1, v5
	;; [unrolled: 1-line block ×4, first 2 shown]
.LBB1_608:                              ;   in Loop: Header=BB1_588 Depth=2
	s_or_b64 exec, exec, s[10:11]
	s_bitcmp0_b32 s8, 14
	s_cselect_b64 s[6:7], -1, 0
	s_mov_b64 s[10:11], -1
	s_and_b64 vcc, exec, s[6:7]
	v_readfirstlane_b32 s9, v0
                                        ; implicit-def: $vgpr4
	s_cbranch_vccnz .LBB1_610
; %bb.609:                              ;   in Loop: Header=BB1_588 Depth=2
	v_mov_b32_e32 v4, s66
	v_cmp_gt_i32_e32 vcc, 64, v9
	s_and_b32 s9, s8, 0x3fff
	v_cndmask_b32_e32 v4, 0, v4, vcc
	s_add_i32 s9, s9, s12
	v_add3_u32 v4, v9, v4, s69
	s_add_i32 s16, s16, s17
	s_cbranch_execnz .LBB1_587
	s_branch .LBB1_611
.LBB1_610:                              ;   in Loop: Header=BB1_588 Depth=2
	s_andn2_b64 vcc, exec, s[10:11]
	s_add_i32 s16, s16, s17
	s_cbranch_vccnz .LBB1_587
.LBB1_611:                              ;   in Loop: Header=BB1_588 Depth=2
	s_and_saveexec_b64 s[10:11], s[4:5]
	s_cbranch_execz .LBB1_586
; %bb.612:                              ;   in Loop: Header=BB1_588 Depth=2
	s_and_b32 s4, s8, 0x3fff
	s_add_i32 s5, s4, s12
	s_cmp_lg_u32 s4, 0
	s_cselect_b32 s4, s5, -1
	v_mov_b32_e32 v4, s12
	v_mov_b32_e32 v5, s4
	ds_write_b64 v41, v[4:5] offset:16992
	v_mov_b32_e32 v4, s13
	ds_write_b8 v41, v4 offset:17000
	v_mov_b32_e32 v4, s16
	s_lshr_b32 s4, s8, 17
	ds_write_b32 v41, v4 offset:17004
	v_mov_b32_e32 v4, s4
	v_mov_b32_e32 v9, 0
	ds_write_b16 v41, v4 offset:17002
	s_branch .LBB1_586
	.section	.rodata,"a",@progbits
	.p2align	6, 0x0
	.amdhsa_kernel _Z23ncclDevKernel_Generic_224ncclDevKernelArgsStorageILm4096EE
		.amdhsa_group_segment_fixed_size 19744
		.amdhsa_private_segment_fixed_size 0
		.amdhsa_kernarg_size 4352
		.amdhsa_user_sgpr_count 14
		.amdhsa_user_sgpr_private_segment_buffer 1
		.amdhsa_user_sgpr_dispatch_ptr 1
		.amdhsa_user_sgpr_queue_ptr 1
		.amdhsa_user_sgpr_kernarg_segment_ptr 1
		.amdhsa_user_sgpr_dispatch_id 1
		.amdhsa_user_sgpr_flat_scratch_init 1
		.amdhsa_user_sgpr_private_segment_size 0
		.amdhsa_uses_dynamic_stack 1
		.amdhsa_system_sgpr_private_segment_wavefront_offset 1
		.amdhsa_system_sgpr_workgroup_id_x 1
		.amdhsa_system_sgpr_workgroup_id_y 1
		.amdhsa_system_sgpr_workgroup_id_z 1
		.amdhsa_system_sgpr_workgroup_info 0
		.amdhsa_system_vgpr_workitem_id 2
		.amdhsa_next_free_vgpr max(totalnumvgprs(_Z23ncclDevKernel_Generic_224ncclDevKernelArgsStorageILm4096EE.num_agpr, _Z23ncclDevKernel_Generic_224ncclDevKernelArgsStorageILm4096EE.num_vgpr), 1, 65)
		.amdhsa_next_free_sgpr max(_Z23ncclDevKernel_Generic_224ncclDevKernelArgsStorageILm4096EE.numbered_sgpr+6, 1, 102)-6
		.amdhsa_reserve_vcc 1
		.amdhsa_reserve_flat_scratch 1
		.amdhsa_float_round_mode_32 0
		.amdhsa_float_round_mode_16_64 0
		.amdhsa_float_denorm_mode_32 3
		.amdhsa_float_denorm_mode_16_64 3
		.amdhsa_dx10_clamp 1
		.amdhsa_ieee_mode 1
		.amdhsa_fp16_overflow 0
		.amdhsa_exception_fp_ieee_invalid_op 0
		.amdhsa_exception_fp_denorm_src 0
		.amdhsa_exception_fp_ieee_div_zero 0
		.amdhsa_exception_fp_ieee_overflow 0
		.amdhsa_exception_fp_ieee_underflow 0
		.amdhsa_exception_fp_ieee_inexact 0
		.amdhsa_exception_int_div_zero 0
	.end_amdhsa_kernel
	.text
.Lfunc_end1:
	.size	_Z23ncclDevKernel_Generic_224ncclDevKernelArgsStorageILm4096EE, .Lfunc_end1-_Z23ncclDevKernel_Generic_224ncclDevKernelArgsStorageILm4096EE
                                        ; -- End function
	.set _Z23ncclDevKernel_Generic_224ncclDevKernelArgsStorageILm4096EE.num_vgpr, max(58, amdgpu.max_num_vgpr)
	.set _Z23ncclDevKernel_Generic_224ncclDevKernelArgsStorageILm4096EE.num_agpr, max(0, amdgpu.max_num_agpr)
	.set _Z23ncclDevKernel_Generic_224ncclDevKernelArgsStorageILm4096EE.numbered_sgpr, max(72, amdgpu.max_num_sgpr)
	.set _Z23ncclDevKernel_Generic_224ncclDevKernelArgsStorageILm4096EE.num_named_barrier, max(0, amdgpu.max_num_named_barrier)
	.set _Z23ncclDevKernel_Generic_224ncclDevKernelArgsStorageILm4096EE.private_seg_size, 0
	.set _Z23ncclDevKernel_Generic_224ncclDevKernelArgsStorageILm4096EE.uses_vcc, 1
	.set _Z23ncclDevKernel_Generic_224ncclDevKernelArgsStorageILm4096EE.uses_flat_scratch, 1
	.set _Z23ncclDevKernel_Generic_224ncclDevKernelArgsStorageILm4096EE.has_dyn_sized_stack, 1
	.set _Z23ncclDevKernel_Generic_224ncclDevKernelArgsStorageILm4096EE.has_recursion, 1
	.set _Z23ncclDevKernel_Generic_224ncclDevKernelArgsStorageILm4096EE.has_indirect_call, 1
	.section	.AMDGPU.csdata,"",@progbits
; Kernel info:
; codeLenInByte = 15440
; TotalNumSgprs: _Z23ncclDevKernel_Generic_224ncclDevKernelArgsStorageILm4096EE.numbered_sgpr+6
; NumVgprs: _Z23ncclDevKernel_Generic_224ncclDevKernelArgsStorageILm4096EE.num_vgpr
; ScratchSize: 0
; MemoryBound: 0
; FloatMode: 240
; IeeeMode: 1
; LDSByteSize: 19744 bytes/workgroup (compile time only)
; SGPRBlocks: (alignto(max(max(_Z23ncclDevKernel_Generic_224ncclDevKernelArgsStorageILm4096EE.numbered_sgpr+extrasgprs(_Z23ncclDevKernel_Generic_224ncclDevKernelArgsStorageILm4096EE.uses_vcc, _Z23ncclDevKernel_Generic_224ncclDevKernelArgsStorageILm4096EE.uses_flat_scratch, 1), 1, 102), 1), 8)/8)-1
; VGPRBlocks: (alignto(max(max(totalnumvgprs(_Z23ncclDevKernel_Generic_224ncclDevKernelArgsStorageILm4096EE.num_agpr, _Z23ncclDevKernel_Generic_224ncclDevKernelArgsStorageILm4096EE.num_vgpr), 1, 65), 1), 4)/4)-1
; NumSGPRsForWavesPerEU: max(_Z23ncclDevKernel_Generic_224ncclDevKernelArgsStorageILm4096EE.numbered_sgpr+6, 1, 102)
; NumVGPRsForWavesPerEU: max(totalnumvgprs(_Z23ncclDevKernel_Generic_224ncclDevKernelArgsStorageILm4096EE.num_agpr, _Z23ncclDevKernel_Generic_224ncclDevKernelArgsStorageILm4096EE.num_vgpr), 1, 65)
; Occupancy: occupancy(10, 4, 256, 8, 3, max(_Z23ncclDevKernel_Generic_224ncclDevKernelArgsStorageILm4096EE.numbered_sgpr+extrasgprs(_Z23ncclDevKernel_Generic_224ncclDevKernelArgsStorageILm4096EE.uses_vcc, _Z23ncclDevKernel_Generic_224ncclDevKernelArgsStorageILm4096EE.uses_flat_scratch, 1), 1, 102), max(totalnumvgprs(_Z23ncclDevKernel_Generic_224ncclDevKernelArgsStorageILm4096EE.num_agpr, _Z23ncclDevKernel_Generic_224ncclDevKernelArgsStorageILm4096EE.num_vgpr), 1, 65))
; WaveLimiterHint : 0
; COMPUTE_PGM_RSRC2:SCRATCH_EN: 1
; COMPUTE_PGM_RSRC2:USER_SGPR: 14
; COMPUTE_PGM_RSRC2:TRAP_HANDLER: 0
; COMPUTE_PGM_RSRC2:TGID_X_EN: 1
; COMPUTE_PGM_RSRC2:TGID_Y_EN: 1
; COMPUTE_PGM_RSRC2:TGID_Z_EN: 1
; COMPUTE_PGM_RSRC2:TIDIG_COMP_CNT: 2
	.text
	.protected	_Z23ncclDevKernel_Generic_424ncclDevKernelArgsStorageILm4096EE ; -- Begin function _Z23ncclDevKernel_Generic_424ncclDevKernelArgsStorageILm4096EE
	.globl	_Z23ncclDevKernel_Generic_424ncclDevKernelArgsStorageILm4096EE
	.p2align	8
	.type	_Z23ncclDevKernel_Generic_424ncclDevKernelArgsStorageILm4096EE,@function
_Z23ncclDevKernel_Generic_424ncclDevKernelArgsStorageILm4096EE: ; @_Z23ncclDevKernel_Generic_424ncclDevKernelArgsStorageILm4096EE
; %bb.0:
	s_add_u32 flat_scratch_lo, s12, s17
	s_addc_u32 flat_scratch_hi, s13, 0
	s_add_u32 s0, s0, s17
	s_addc_u32 s1, s1, 0
	s_mov_b32 s33, s16
	s_mov_b32 s54, s15
	s_mov_b32 s55, s14
	s_mov_b64 s[34:35], s[10:11]
	s_mov_b64 s[36:37], s[8:9]
	;; [unrolled: 1-line block ×4, first 2 shown]
	v_cmp_gt_u32_e32 vcc, 12, v0
	s_mov_b32 s32, 0
	s_and_saveexec_b64 s[4:5], vcc
	s_cbranch_execz .LBB2_2
; %bb.1:
	v_lshlrev_b32_e32 v3, 2, v0
	global_load_dword v4, v3, s[36:37]
	s_waitcnt vmcnt(0)
	ds_write_b32 v3, v4 offset:16448
.LBB2_2:
	s_or_b64 exec, exec, s[4:5]
	s_load_dword s18, s[36:37], 0x100c
	v_lshrrev_b32_e32 v14, 6, v0
	v_cmp_lt_i32_e32 vcc, 0, v14
	s_and_saveexec_b64 s[4:5], vcc
	s_xor_b64 s[4:5], exec, s[4:5]
	s_cbranch_execz .LBB2_16
; %bb.3:
	v_cmp_lt_i32_e32 vcc, 2, v14
	s_and_saveexec_b64 s[6:7], vcc
	s_xor_b64 s[6:7], exec, s[6:7]
	s_cbranch_execz .LBB2_8
; %bb.4:
	v_cmp_eq_u32_e32 vcc, 3, v14
	s_and_saveexec_b64 s[8:9], vcc
	s_cbranch_execz .LBB2_7
; %bb.5:
	s_movk_i32 s10, 0xc0
	v_cmp_eq_u32_e32 vcc, s10, v0
	s_and_b64 exec, exec, vcc
; %bb.6:
	v_mov_b32_e32 v3, 0
	ds_write_b32 v3, v3 offset:16500
.LBB2_7:
	s_or_b64 exec, exec, s[8:9]
.LBB2_8:
	s_andn2_saveexec_b64 s[6:7], s[6:7]
	s_cbranch_execz .LBB2_15
; %bb.9:
	v_cmp_eq_u32_e32 vcc, 1, v14
	s_and_saveexec_b64 s[8:9], vcc
	s_cbranch_execz .LBB2_14
; %bb.10:
	s_movk_i32 s10, 0x44
	v_cmp_gt_u32_e32 vcc, s10, v0
	s_and_b64 exec, exec, vcc
	s_cbranch_execz .LBB2_14
; %bb.11:
	v_cmp_eq_u32_e32 vcc, 64, v0
	s_and_saveexec_b64 s[10:11], vcc
; %bb.12:
	v_mov_b32_e32 v3, 0
	v_mov_b32_e32 v4, v3
	ds_write_b64 v3, v[3:4] offset:19736
; %bb.13:
	s_or_b64 exec, exec, s[10:11]
	s_movk_i32 s10, 0x160
	v_mov_b32_e32 v3, 0xffffeb98
	v_mad_u32_u24 v5, v0, s10, v3
	v_mov_b32_e32 v3, 0
	v_mov_b32_e32 v4, v3
	ds_write_b64 v5, v[3:4]
.LBB2_14:
	s_or_b64 exec, exec, s[8:9]
.LBB2_15:
	s_or_b64 exec, exec, s[6:7]
.LBB2_16:
	s_andn2_saveexec_b64 s[4:5], s[4:5]
	s_cbranch_execz .LBB2_22
; %bb.17:
	s_load_dwordx2 s[8:9], s[36:37], 0x8
	v_lshlrev_b64 v[3:4], v0, 1
	s_mov_b64 s[6:7], 0
	v_add_co_u32_e32 v5, vcc, -1, v3
	v_addc_co_u32_e32 v6, vcc, -1, v4, vcc
	s_waitcnt lgkmcnt(0)
	v_and_b32_e32 v8, s9, v4
	v_and_b32_e32 v7, s8, v3
	v_cmp_eq_u64_e64 s[12:13], 0, v[7:8]
	v_cmp_ne_u64_e32 vcc, 0, v[7:8]
	s_and_saveexec_b64 s[10:11], vcc
	s_cbranch_execz .LBB2_54
; %bb.18:
	v_and_b32_e32 v8, s8, v5
	v_and_b32_e32 v7, s9, v6
	v_bcnt_u32_b32 v8, v8, 0
	v_bcnt_u32_b32 v7, v7, v8
	v_cmp_ne_u32_e32 vcc, s55, v7
	s_andn2_b64 s[12:13], s[12:13], exec
	s_and_b64 s[14:15], vcc, exec
	s_mov_b64 s[6:7], exec
	s_or_b64 s[12:13], s[12:13], s[14:15]
	s_or_b64 exec, exec, s[10:11]
	v_mov_b32_e32 v7, 0
	s_and_saveexec_b64 s[10:11], s[12:13]
	s_cbranch_execnz .LBB2_55
.LBB2_19:
	s_or_b64 exec, exec, s[10:11]
	s_and_saveexec_b64 s[8:9], s[6:7]
.LBB2_20:
	v_add_u32_e32 v3, v7, v0
	v_mov_b32_e32 v4, 0
	ds_write_b32 v4, v3 offset:16496
.LBB2_21:
	s_or_b64 exec, exec, s[8:9]
.LBB2_22:
	s_or_b64 exec, exec, s[4:5]
	v_cmp_eq_u32_e64 s[50:51], 0, v0
	s_waitcnt lgkmcnt(0)
	s_barrier
	s_and_saveexec_b64 s[4:5], s[50:51]
	s_cbranch_execz .LBB2_24
; %bb.23:
	v_mov_b32_e32 v5, 0
	ds_read_b32 v6, v5 offset:16496
	ds_read_b64 v[3:4], v5 offset:16448
	s_movk_i32 s6, 0x180
	s_waitcnt lgkmcnt(1)
	v_mul_lo_u32 v7, v6, s6
	v_mul_hi_i32 v6, v6, s6
	s_waitcnt lgkmcnt(0)
	v_add_co_u32_e32 v3, vcc, v3, v7
	v_addc_co_u32_e32 v4, vcc, v4, v6, vcc
	flat_load_dwordx2 v[3:4], v[3:4] offset:464
	ds_write_b32 v5, v5 offset:16500
	s_waitcnt vmcnt(0) lgkmcnt(0)
	ds_write_b64 v5, v[3:4] offset:16976
.LBB2_24:
	s_or_b64 exec, exec, s[4:5]
	s_and_b32 s66, 0xffff, s18
	v_cmp_lt_i32_e32 vcc, 0, v14
	s_and_saveexec_b64 s[4:5], vcc
	s_xor_b64 s[8:9], exec, s[4:5]
	s_cbranch_execz .LBB2_63
; %bb.25:
	v_cmp_ne_u32_e32 vcc, 1, v14
	s_and_saveexec_b64 s[4:5], vcc
	s_xor_b64 s[10:11], exec, s[4:5]
	s_cbranch_execz .LBB2_58
; %bb.26:
	v_add_u32_e32 v20, 0xffffff80, v0
	v_lshrrev_b16_e32 v3, 10, v20
	v_add_u16_e32 v3, v20, v3
	v_and_b32_e32 v3, 0xffffffc0, v3
	v_sub_u16_e32 v15, v20, v3
	v_bfe_i32 v3, v15, 0, 16
	v_lshlrev_b64 v[11:12], v3, 1
	s_add_i32 s20, s66, 0xffffff80
	v_add_co_u32_e32 v17, vcc, -1, v11
	s_movk_i32 s21, 0xffc0
	v_mul_u32_u24_e32 v16, 0x1010, v14
	v_addc_co_u32_e32 v18, vcc, -1, v12, vcc
	s_mov_b32 s22, 0
	v_mov_b32_e32 v19, 0
	s_mov_b32 s23, 0x66666667
	s_mov_b32 s12, s55
                                        ; implicit-def: $vgpr3_vgpr4_vgpr5_vgpr6
	s_branch .LBB2_29
.LBB2_27:                               ;   in Loop: Header=BB2_29 Depth=1
	s_or_b64 exec, exec, s[16:17]
	s_mov_b32 s15, s12
	v_mov_b32_e32 v7, v20
.LBB2_28:                               ;   in Loop: Header=BB2_29 Depth=1
	s_andn2_b64 vcc, exec, s[6:7]
	s_mov_b32 s12, s15
	v_mov_b32_e32 v20, v7
	s_cbranch_vccz .LBB2_58
.LBB2_29:                               ; =>This Inner Loop Header: Depth=1
	s_ashr_i32 s13, s12, 31
	s_lshl_b64 s[4:5], s[12:13], 4
	s_add_u32 s4, s36, s4
	s_addc_u32 s5, s37, s5
	s_load_dwordx2 s[6:7], s[4:5], 0x38
	s_waitcnt lgkmcnt(0)
	v_and_b32_e32 v8, s7, v12
	v_and_b32_e32 v7, s6, v11
	v_cmp_ne_u64_e32 vcc, 0, v[7:8]
	s_and_saveexec_b64 s[14:15], vcc
	s_cbranch_execz .LBB2_31
; %bb.30:                               ;   in Loop: Header=BB2_29 Depth=1
	v_and_b32_e32 v8, s6, v17
	v_and_b32_e32 v7, s7, v18
	v_bcnt_u32_b32 v8, v8, 0
	v_bcnt_u32_b32 v7, v7, v8
	v_add_u32_e32 v7, v16, v7
	ds_write_b8 v7, v15
.LBB2_31:                               ;   in Loop: Header=BB2_29 Depth=1
	s_or_b64 exec, exec, s[14:15]
	s_load_dwordx2 s[14:15], s[4:5], 0x30
	s_bcnt1_i32_b64 s24, s[6:7]
	s_mov_b64 s[4:5], -1
                                        ; implicit-def: $vgpr21
                                        ; implicit-def: $vgpr22
                                        ; implicit-def: $vgpr7
                                        ; implicit-def: $vgpr23
	s_waitcnt lgkmcnt(0)
	s_bfe_u32 s13, s14, 0x2000f
	s_cmp_lt_i32 s13, 1
	s_cbranch_scc1 .LBB2_39
; %bb.32:                               ;   in Loop: Header=BB2_29 Depth=1
	s_cmp_lg_u32 s13, 1
                                        ; implicit-def: $vgpr21
                                        ; implicit-def: $vgpr22
                                        ; implicit-def: $vgpr7
	s_cbranch_scc0 .LBB2_34
; %bb.33:                               ;   in Loop: Header=BB2_29 Depth=1
	v_mul_hi_i32 v7, v20, s23
	s_mov_b64 s[4:5], 0
	v_lshrrev_b32_e32 v8, 31, v7
	v_ashrrev_i32_e32 v7, 3, v7
	v_add_u32_e32 v21, v7, v8
	v_mul_lo_u32 v8, v21, 20
	v_mul_u32_u24_e64 v7, s24, 20
	v_sub_u32_e32 v22, v20, v8
.LBB2_34:                               ;   in Loop: Header=BB2_29 Depth=1
	s_andn2_b64 vcc, exec, s[4:5]
	s_movk_i32 s6, 0x140
	s_cbranch_vccnz .LBB2_36
; %bb.35:                               ;   in Loop: Header=BB2_29 Depth=1
	v_ashrrev_i32_e32 v7, 31, v20
	v_lshrrev_b32_e32 v7, 29, v7
	v_add_u32_e32 v7, v20, v7
	s_lshl_b32 s4, s24, 3
	v_ashrrev_i32_e32 v21, 3, v7
	v_and_b32_e32 v7, -8, v7
	v_sub_u32_e32 v22, v20, v7
	s_movk_i32 s6, 0x80
	v_mov_b32_e32 v7, s4
.LBB2_36:                               ;   in Loop: Header=BB2_29 Depth=1
	v_mov_b32_e32 v23, s6
	s_cbranch_execz .LBB2_40
.LBB2_37:                               ;   in Loop: Header=BB2_29 Depth=1
	v_cmp_eq_u32_e64 s[4:5], 0, v20
	s_and_saveexec_b64 s[6:7], s[4:5]
	s_cbranch_execz .LBB2_41
.LBB2_38:                               ;   in Loop: Header=BB2_29 Depth=1
	ds_write_b32 v19, v23 offset:17008
	s_or_b64 exec, exec, s[6:7]
	v_cmp_lt_i32_e32 vcc, v20, v7
	s_and_saveexec_b64 s[16:17], vcc
	s_cbranch_execz .LBB2_49
	s_branch .LBB2_42
.LBB2_39:                               ;   in Loop: Header=BB2_29 Depth=1
	s_andn2_b64 vcc, exec, s[4:5]
	s_cbranch_vccnz .LBB2_37
.LBB2_40:                               ;   in Loop: Header=BB2_29 Depth=1
	v_ashrrev_i32_e32 v7, 31, v20
	v_lshrrev_b32_e32 v7, 30, v7
	v_add_u32_e32 v7, v20, v7
	s_lshl_b32 s4, s24, 2
	v_ashrrev_i32_e32 v21, 2, v7
	v_and_b32_e32 v7, -4, v7
	v_sub_u32_e32 v22, v20, v7
	v_mov_b32_e32 v23, 64
	v_mov_b32_e32 v7, s4
	v_cmp_eq_u32_e64 s[4:5], 0, v20
	s_and_saveexec_b64 s[6:7], s[4:5]
	s_cbranch_execnz .LBB2_38
.LBB2_41:                               ;   in Loop: Header=BB2_29 Depth=1
	s_or_b64 exec, exec, s[6:7]
	v_cmp_lt_i32_e32 vcc, v20, v7
	s_and_saveexec_b64 s[16:17], vcc
	s_cbranch_execz .LBB2_49
.LBB2_42:                               ;   in Loop: Header=BB2_29 Depth=1
	ds_read_u8 v7, v19 offset:16472
	v_add_u32_e32 v8, v16, v21
	ds_read_u8 v24, v8
	s_waitcnt lgkmcnt(1)
	v_cmp_ne_u32_e64 s[6:7], 0, v7
	s_and_b64 vcc, exec, s[6:7]
	s_cbranch_vccz .LBB2_45
; %bb.43:                               ;   in Loop: Header=BB2_29 Depth=1
	s_mov_b64 s[18:19], -1
	s_and_b64 vcc, exec, s[6:7]
                                        ; implicit-def: $vgpr7_vgpr8_vgpr9_vgpr10
                                        ; implicit-def: $vgpr13
	s_cbranch_vccz .LBB2_46
.LBB2_44:                               ;   in Loop: Header=BB2_29 Depth=1
	ds_read_b32 v9, v19 offset:16476
	ds_read_b64 v[7:8], v19 offset:16480
	s_waitcnt lgkmcnt(2)
	v_mul_u32_u24_e32 v10, v23, v24
	v_lshlrev_b32_e32 v13, 4, v22
	v_add3_u32 v10, v13, s15, v10
	s_waitcnt lgkmcnt(1)
	v_and_b32_e32 v9, v9, v10
	s_waitcnt lgkmcnt(0)
	v_add_co_u32_e32 v7, vcc, v7, v9
	v_addc_co_u32_e32 v8, vcc, 0, v8, vcc
	flat_load_dwordx4 v[7:10], v[7:8]
	s_cbranch_execz .LBB2_47
	s_branch .LBB2_48
.LBB2_45:                               ;   in Loop: Header=BB2_29 Depth=1
	v_lshlrev_b32_e32 v3, 4, v22
	s_waitcnt lgkmcnt(0)
	v_mul_u32_u24_e32 v4, v23, v24
	v_add3_u32 v3, v3, s15, v4
	global_load_dwordx4 v[3:6], v3, s[36:37]
	s_mov_b64 s[18:19], -1
	s_and_b64 vcc, exec, s[6:7]
                                        ; implicit-def: $vgpr7_vgpr8_vgpr9_vgpr10
                                        ; implicit-def: $vgpr13
	s_cbranch_vccnz .LBB2_44
.LBB2_46:                               ;   in Loop: Header=BB2_29 Depth=1
	s_andn2_b64 vcc, exec, s[18:19]
	s_cbranch_vccnz .LBB2_48
.LBB2_47:                               ;   in Loop: Header=BB2_29 Depth=1
	s_waitcnt vmcnt(0) lgkmcnt(0)
	v_mov_b32_e32 v10, v6
	v_lshlrev_b32_e32 v13, 4, v22
	v_mov_b32_e32 v9, v5
	v_mov_b32_e32 v8, v4
	;; [unrolled: 1-line block ×3, first 2 shown]
.LBB2_48:                               ;   in Loop: Header=BB2_29 Depth=1
	s_waitcnt vmcnt(0)
	v_add_u32_e32 v3, s22, v21
	v_mad_u64_u32 v[3:4], s[6:7], v3, v23, v[13:14]
	s_waitcnt lgkmcnt(0)
	ds_write_b128 v3, v[7:10] offset:18704
	v_mov_b32_e32 v3, v7
	v_mov_b32_e32 v4, v8
	;; [unrolled: 1-line block ×4, first 2 shown]
.LBB2_49:                               ;   in Loop: Header=BB2_29 Depth=1
	s_or_b64 exec, exec, s[16:17]
	s_bitcmp0_b32 s14, 14
	s_cselect_b64 s[6:7], -1, 0
	s_mov_b64 s[16:17], -1
	s_and_b64 vcc, exec, s[6:7]
	v_readfirstlane_b32 s15, v0
                                        ; implicit-def: $vgpr7
	s_cbranch_vccnz .LBB2_51
; %bb.50:                               ;   in Loop: Header=BB2_29 Depth=1
	v_mov_b32_e32 v7, s20
	v_cmp_gt_i32_e32 vcc, 64, v20
	s_and_b32 s15, s14, 0x3fff
	v_cndmask_b32_e32 v7, 0, v7, vcc
	s_add_i32 s15, s15, s12
	v_add3_u32 v7, v20, v7, s21
	s_add_i32 s22, s22, s24
	s_cbranch_execnz .LBB2_28
	s_branch .LBB2_52
.LBB2_51:                               ;   in Loop: Header=BB2_29 Depth=1
	s_andn2_b64 vcc, exec, s[16:17]
	s_add_i32 s22, s22, s24
	s_cbranch_vccnz .LBB2_28
.LBB2_52:                               ;   in Loop: Header=BB2_29 Depth=1
	s_and_saveexec_b64 s[16:17], s[4:5]
	s_cbranch_execz .LBB2_27
; %bb.53:                               ;   in Loop: Header=BB2_29 Depth=1
	s_and_b32 s4, s14, 0x3fff
	s_add_i32 s5, s4, s12
	s_cmp_lg_u32 s4, 0
	s_cselect_b32 s4, s5, -1
	v_mov_b32_e32 v7, s12
	v_mov_b32_e32 v8, s4
	ds_write_b64 v19, v[7:8] offset:16992
	v_mov_b32_e32 v7, s13
	ds_write_b8 v19, v7 offset:17000
	v_mov_b32_e32 v7, s22
	s_lshr_b32 s4, s14, 17
	ds_write_b32 v19, v7 offset:17004
	v_mov_b32_e32 v7, s4
	v_mov_b32_e32 v20, 0
	ds_write_b16 v19, v7 offset:17002
	s_branch .LBB2_27
.LBB2_54:
	s_or_b64 exec, exec, s[10:11]
	v_mov_b32_e32 v7, 0
	s_and_saveexec_b64 s[10:11], s[12:13]
	s_cbranch_execz .LBB2_19
.LBB2_55:
	s_load_dwordx2 s[12:13], s[36:37], 0x10
	s_mov_b64 s[14:15], 0
                                        ; implicit-def: $sgpr19
	s_waitcnt lgkmcnt(0)
	v_and_b32_e32 v4, s13, v4
	v_and_b32_e32 v3, s12, v3
	v_cmp_ne_u64_e32 vcc, 0, v[3:4]
	s_and_saveexec_b64 s[16:17], vcc
	s_xor_b64 s[16:17], exec, s[16:17]
; %bb.56:
	v_and_b32_e32 v4, s12, v5
	v_and_b32_e32 v3, s13, v6
	v_bcnt_u32_b32 v4, v4, 0
	s_bcnt1_i32_b64 s19, s[8:9]
	v_bcnt_u32_b32 v3, v3, v4
	v_add_u32_e32 v3, s19, v3
	v_cmp_eq_u32_e32 vcc, s55, v3
	s_and_b64 s[14:15], vcc, exec
; %bb.57:
	s_or_b64 exec, exec, s[16:17]
	s_andn2_b64 s[6:7], s[6:7], exec
	s_and_b64 s[8:9], s[14:15], exec
	v_mov_b32_e32 v7, s19
	s_or_b64 s[6:7], s[6:7], s[8:9]
	s_or_b64 exec, exec, s[10:11]
	s_and_saveexec_b64 s[8:9], s[6:7]
	s_cbranch_execnz .LBB2_20
	s_branch .LBB2_21
.LBB2_58:
	s_andn2_saveexec_b64 s[4:5], s[10:11]
	s_cbranch_execz .LBB2_62
; %bb.59:
	s_movk_i32 s6, 0x58
	v_cmp_gt_u32_e32 vcc, s6, v0
	s_and_saveexec_b64 s[6:7], vcc
	s_cbranch_execz .LBB2_61
; %bb.60:
	v_mov_b32_e32 v3, 0
	ds_read_b32 v5, v3 offset:16496
	ds_read_b64 v[3:4], v3 offset:16448
	s_movk_i32 s10, 0x180
	v_lshlrev_b32_e32 v7, 4, v0
	s_waitcnt lgkmcnt(1)
	v_mul_lo_u32 v6, v5, s10
	v_mul_hi_i32 v5, v5, s10
	s_waitcnt lgkmcnt(0)
	v_add_co_u32_e32 v3, vcc, v3, v6
	v_addc_co_u32_e32 v4, vcc, v4, v5, vcc
	v_add_u32_e32 v5, 0xfffffc00, v7
	v_ashrrev_i32_e32 v6, 31, v5
	v_add_co_u32_e32 v3, vcc, v3, v5
	v_addc_co_u32_e32 v4, vcc, v4, v6, vcc
	flat_load_dwordx4 v[3:6], v[3:4] offset:96
	s_waitcnt vmcnt(0) lgkmcnt(0)
	ds_write_b128 v7, v[3:6] offset:15584
.LBB2_61:
	s_or_b64 exec, exec, s[6:7]
.LBB2_62:
	s_or_b64 exec, exec, s[4:5]
.LBB2_63:
	s_andn2_saveexec_b64 s[4:5], s[8:9]
	s_cbranch_execz .LBB2_67
; %bb.64:
	v_cmp_gt_u32_e32 vcc, 6, v0
	s_and_saveexec_b64 s[6:7], vcc
	s_cbranch_execz .LBB2_66
; %bb.65:
	v_mov_b32_e32 v3, 0
	ds_read_b64 v[3:4], v3 offset:16448
	v_lshlrev_b32_e32 v7, 4, v0
	s_waitcnt lgkmcnt(0)
	v_add_co_u32_e32 v3, vcc, v3, v7
	v_addc_co_u32_e32 v4, vcc, 0, v4, vcc
	flat_load_dwordx4 v[3:6], v[3:4]
	s_waitcnt vmcnt(0) lgkmcnt(0)
	ds_write_b128 v7, v[3:6] offset:16512
.LBB2_66:
	s_or_b64 exec, exec, s[6:7]
.LBB2_67:
	s_or_b64 exec, exec, s[4:5]
	v_mov_b32_e32 v41, 0
	s_waitcnt lgkmcnt(0)
	s_barrier
	ds_read_b32 v3, v41 offset:16500
	s_waitcnt lgkmcnt(0)
	v_cmp_ne_u32_e32 vcc, 0, v3
	s_cbranch_vccz .LBB2_80
.LBB2_68:
	s_and_saveexec_b64 s[4:5], s[50:51]
	s_cbranch_execz .LBB2_79
; %bb.69:
	v_mov_b32_e32 v6, 0
	ds_read_b64 v[2:3], v6 offset:16976
	ds_read_b32 v7, v6 offset:17004
	s_waitcnt lgkmcnt(0)
	v_add_co_u32_e32 v0, vcc, 1, v2
	v_addc_co_u32_e32 v1, vcc, 0, v3, vcc
	v_ashrrev_i32_e32 v5, 31, v7
	v_add_co_u32_e32 v4, vcc, v2, v7
	v_addc_co_u32_e32 v5, vcc, v3, v5, vcc
	v_cmp_gt_u64_e32 vcc, v[0:1], v[4:5]
	s_cbranch_vccnz .LBB2_78
; %bb.70:
	ds_read_u8 v8, v6 offset:17000
	s_movk_i32 s6, 0x494e
	s_movk_i32 s7, 0x491a
	s_branch .LBB2_72
.LBB2_71:                               ;   in Loop: Header=BB2_72 Depth=1
	v_add_co_u32_e32 v0, vcc, 1, v0
	v_addc_co_u32_e32 v1, vcc, 0, v1, vcc
	s_waitcnt lgkmcnt(0)
	v_ashrrev_i32_e32 v5, 31, v7
	v_add_co_u32_e32 v4, vcc, v2, v7
	v_addc_co_u32_e32 v5, vcc, v3, v5, vcc
	v_cmp_le_u64_e32 vcc, v[0:1], v[4:5]
	s_add_i32 s6, s6, 64
	s_addk_i32 s7, 0x80
	s_cbranch_vccz .LBB2_78
.LBB2_72:                               ; =>This Inner Loop Header: Depth=1
	s_waitcnt lgkmcnt(0)
	v_cmp_ne_u32_sdwa s[4:5], v8, v6 src0_sel:BYTE_0 src1_sel:DWORD
	s_and_b64 vcc, exec, s[4:5]
	s_cbranch_vccz .LBB2_77
; %bb.73:                               ;   in Loop: Header=BB2_72 Depth=1
	v_mov_b32_e32 v4, s7
	ds_read_u8 v4, v4
	s_waitcnt lgkmcnt(0)
	v_and_b32_e32 v4, 1, v4
	s_cbranch_execnz .LBB2_75
.LBB2_74:                               ;   in Loop: Header=BB2_72 Depth=1
	v_mov_b32_e32 v4, s6
	ds_read_u16 v4, v4
	s_waitcnt lgkmcnt(0)
	v_bfe_u32 v4, v4, 6, 1
.LBB2_75:                               ;   in Loop: Header=BB2_72 Depth=1
	v_cmp_eq_u32_e32 vcc, 0, v4
	s_cbranch_vccnz .LBB2_71
; %bb.76:                               ;   in Loop: Header=BB2_72 Depth=1
	s_memrealtime s[4:5]
	ds_read_u8 v8, v6 offset:17000
	ds_read_b32 v2, v6 offset:16496
	ds_read_b64 v[4:5], v6 offset:16600
	s_waitcnt lgkmcnt(0)
	v_ashrrev_i32_e32 v3, 31, v2
	v_lshlrev_b64 v[2:3], 10, v[2:3]
	v_add_co_u32_e32 v2, vcc, v4, v2
	v_and_b32_e32 v4, 63, v0
	v_addc_co_u32_e32 v3, vcc, v5, v3, vcc
	v_lshlrev_b32_e32 v4, 4, v4
	v_add_co_u32_e32 v4, vcc, v2, v4
	v_addc_co_u32_e32 v5, vcc, 0, v3, vcc
	v_mov_b32_e32 v2, s4
	v_mov_b32_e32 v3, s5
	flat_store_dwordx4 v[4:5], v[0:3]
	ds_read_b64 v[2:3], v6 offset:16976
	ds_read_b32 v7, v6 offset:17004
	s_branch .LBB2_71
.LBB2_77:                               ;   in Loop: Header=BB2_72 Depth=1
                                        ; implicit-def: $vgpr4
	s_branch .LBB2_74
.LBB2_78:
	v_mov_b32_e32 v2, 0
	ds_read_b32 v3, v2 offset:16496
	ds_read_b64 v[0:1], v2 offset:16448
	s_movk_i32 s4, 0x180
	ds_write_b64 v2, v[4:5] offset:16976
	s_waitcnt lgkmcnt(0)
	v_mul_lo_u32 v6, v3, s4
	v_mul_hi_i32 v2, v3, s4
	v_add_co_u32_e32 v0, vcc, v0, v6
	v_addc_co_u32_e32 v1, vcc, v1, v2, vcc
	flat_store_dwordx2 v[0:1], v[4:5] offset:464
.LBB2_79:
	s_endpgm
.LBB2_80:
	s_movk_i32 s4, 0x44
	v_lshlrev_b64 v[43:44], v0, 1
	v_cmp_eq_u32_e32 vcc, 1, v14
	v_cmp_gt_u32_e64 s[4:5], s4, v0
	s_and_b64 s[64:65], vcc, s[4:5]
	s_movk_i32 s4, 0x160
	v_mov_b32_e32 v3, 0xffffeb98
	v_add_co_u32_e32 v56, vcc, -1, v43
	v_lshlrev_b32_e32 v2, 20, v2
	v_lshlrev_b32_e32 v1, 10, v1
	v_cmp_eq_u32_e64 s[52:53], 64, v0
	v_mad_u32_u24 v45, v0, s4, v3
	v_and_b32_e32 v46, 63, v0
	v_mul_u32_u24_e32 v47, 0x1010, v14
	v_addc_co_u32_e32 v57, vcc, -1, v44, vcc
	s_movk_i32 s67, 0x58
	v_or3_b32 v40, v0, v1, v2
	s_mov_b32 s68, 0x66666667
	s_movk_i32 s69, 0xffc0
	s_branch .LBB2_82
.LBB2_81:                               ;   in Loop: Header=BB2_82 Depth=1
	s_waitcnt vmcnt(0) lgkmcnt(0)
	s_barrier
	ds_read_b32 v0, v41 offset:16500
	s_waitcnt lgkmcnt(0)
	v_cmp_ne_u32_e64 s[4:5], 0, v0
	s_and_b64 vcc, exec, s[4:5]
	s_cbranch_vccnz .LBB2_68
.LBB2_82:                               ; =>This Loop Header: Depth=1
                                        ;     Child Loop BB2_86 Depth 2
                                        ;     Child Loop BB2_577 Depth 2
	;; [unrolled: 1-line block ×3, first 2 shown]
	s_and_saveexec_b64 s[4:5], s[50:51]
	s_cbranch_execz .LBB2_92
; %bb.83:                               ;   in Loop: Header=BB2_82 Depth=1
	ds_read_b64 v[2:3], v41 offset:16976
	ds_read_b32 v4, v41 offset:17004
	s_waitcnt lgkmcnt(0)
	v_add_co_u32_e32 v0, vcc, 1, v2
	v_addc_co_u32_e32 v1, vcc, 0, v3, vcc
	s_waitcnt lgkmcnt(0)
	v_ashrrev_i32_e32 v6, 31, v4
	v_add_co_u32_e32 v5, vcc, v2, v4
	v_addc_co_u32_e32 v6, vcc, v3, v6, vcc
	v_cmp_gt_u64_e32 vcc, v[0:1], v[5:6]
	s_cbranch_vccnz .LBB2_92
; %bb.84:                               ;   in Loop: Header=BB2_82 Depth=1
	ds_read_u8 v5, v41 offset:17000
	s_movk_i32 s8, 0x494e
	s_movk_i32 s9, 0x491a
	s_branch .LBB2_86
.LBB2_85:                               ;   in Loop: Header=BB2_86 Depth=2
	v_add_co_u32_e32 v0, vcc, 1, v0
	v_addc_co_u32_e32 v1, vcc, 0, v1, vcc
	s_waitcnt lgkmcnt(0)
	v_ashrrev_i32_e32 v7, 31, v4
	v_add_co_u32_e32 v6, vcc, v2, v4
	v_addc_co_u32_e32 v7, vcc, v3, v7, vcc
	v_cmp_le_u64_e32 vcc, v[0:1], v[6:7]
	s_add_i32 s8, s8, 64
	s_addk_i32 s9, 0x80
	s_cbranch_vccz .LBB2_92
.LBB2_86:                               ;   Parent Loop BB2_82 Depth=1
                                        ; =>  This Inner Loop Header: Depth=2
	s_waitcnt lgkmcnt(0)
	v_cmp_ne_u32_sdwa s[6:7], v5, v41 src0_sel:BYTE_0 src1_sel:DWORD
	s_and_b64 vcc, exec, s[6:7]
	s_cbranch_vccz .LBB2_91
; %bb.87:                               ;   in Loop: Header=BB2_86 Depth=2
	v_mov_b32_e32 v6, s9
	ds_read_u8 v6, v6
	s_waitcnt lgkmcnt(0)
	v_and_b32_e32 v6, 1, v6
	s_cbranch_execnz .LBB2_89
.LBB2_88:                               ;   in Loop: Header=BB2_86 Depth=2
	v_mov_b32_e32 v6, s8
	ds_read_u16 v6, v6
	s_waitcnt lgkmcnt(0)
	v_bfe_u32 v6, v6, 6, 1
.LBB2_89:                               ;   in Loop: Header=BB2_86 Depth=2
	v_cmp_eq_u32_e32 vcc, 0, v6
	s_cbranch_vccnz .LBB2_85
; %bb.90:                               ;   in Loop: Header=BB2_86 Depth=2
	s_memrealtime s[6:7]
	ds_read_u8 v5, v41 offset:17000
	ds_read_b32 v2, v41 offset:16496
	ds_read_b64 v[6:7], v41 offset:16592
	v_and_b32_e32 v4, 63, v0
	v_lshlrev_b32_e32 v4, 4, v4
	s_waitcnt lgkmcnt(0)
	v_ashrrev_i32_e32 v3, 31, v2
	v_lshlrev_b64 v[2:3], 10, v[2:3]
	v_add_co_u32_e32 v2, vcc, v6, v2
	v_addc_co_u32_e32 v3, vcc, v7, v3, vcc
	v_add_co_u32_e32 v6, vcc, v2, v4
	v_addc_co_u32_e32 v7, vcc, 0, v3, vcc
	v_mov_b32_e32 v2, s6
	v_mov_b32_e32 v3, s7
	flat_store_dwordx4 v[6:7], v[0:3]
	ds_read_b64 v[2:3], v41 offset:16976
	ds_read_b32 v4, v41 offset:17004
	s_branch .LBB2_85
.LBB2_91:                               ;   in Loop: Header=BB2_86 Depth=2
                                        ; implicit-def: $vgpr6
	s_branch .LBB2_88
.LBB2_92:                               ;   in Loop: Header=BB2_82 Depth=1
	s_or_b64 exec, exec, s[4:5]
	ds_read_u16 v0, v41 offset:17002
	s_waitcnt lgkmcnt(0)
	v_cmp_gt_u32_sdwa s[4:5], v0, s67 src0_sel:WORD_0 src1_sel:DWORD
	v_readfirstlane_b32 s70, v0
	s_and_b64 vcc, exec, s[4:5]
	s_mov_b64 s[4:5], -1
	s_cbranch_vccz .LBB2_257
; %bb.93:                               ;   in Loop: Header=BB2_82 Depth=1
	s_and_b32 s71, 0xffff, s70
	s_cmpk_gt_u32 s71, 0x85
	s_cbranch_scc0 .LBB2_172
; %bb.94:                               ;   in Loop: Header=BB2_82 Depth=1
	s_cmpk_gt_u32 s71, 0x9b
	s_cbranch_scc0 .LBB2_134
; %bb.95:                               ;   in Loop: Header=BB2_82 Depth=1
	;; [unrolled: 3-line block ×6, first 2 shown]
	s_add_u32 s8, s36, 0x1000
	s_addc_u32 s9, s37, 0
	s_getpc_b64 s[16:17]
	s_add_u32 s16, s16, _Z50ncclDevFunc_AlltoAllPivot_RING_SIMPLE_Sum_i8_0_0_4v@rel32@lo+4
	s_addc_u32 s17, s17, _Z50ncclDevFunc_AlltoAllPivot_RING_SIMPLE_Sum_i8_0_0_4v@rel32@hi+12
	s_mov_b64 s[4:5], s[48:49]
	s_mov_b64 s[6:7], s[38:39]
	;; [unrolled: 1-line block ×3, first 2 shown]
	s_mov_b32 s12, s55
	s_mov_b32 s13, s54
	s_mov_b32 s14, s33
	v_mov_b32_e32 v31, v40
	s_swappc_b64 s[30:31], s[16:17]
	s_mov_b64 s[4:5], 0
.LBB2_100:                              ;   in Loop: Header=BB2_82 Depth=1
	s_andn2_b64 vcc, exec, s[4:5]
	s_cbranch_vccnz .LBB2_102
; %bb.101:                              ;   in Loop: Header=BB2_82 Depth=1
	s_add_u32 s8, s36, 0x1000
	s_addc_u32 s9, s37, 0
	s_getpc_b64 s[16:17]
	s_add_u32 s16, s16, _Z45ncclDevFunc_SendRecv_RING_SIMPLE_Sum_i8_0_0_4v@rel32@lo+4
	s_addc_u32 s17, s17, _Z45ncclDevFunc_SendRecv_RING_SIMPLE_Sum_i8_0_0_4v@rel32@hi+12
	s_mov_b64 s[4:5], s[48:49]
	s_mov_b64 s[6:7], s[38:39]
	;; [unrolled: 1-line block ×3, first 2 shown]
	s_mov_b32 s12, s55
	s_mov_b32 s13, s54
	;; [unrolled: 1-line block ×3, first 2 shown]
	v_mov_b32_e32 v31, v40
	s_swappc_b64 s[30:31], s[16:17]
.LBB2_102:                              ;   in Loop: Header=BB2_82 Depth=1
	s_mov_b64 s[4:5], 0
.LBB2_103:                              ;   in Loop: Header=BB2_82 Depth=1
	s_andn2_b64 vcc, exec, s[4:5]
	s_cbranch_vccnz .LBB2_108
; %bb.104:                              ;   in Loop: Header=BB2_82 Depth=1
	s_cmpk_lg_i32 s71, 0xad
	s_mov_b64 s[4:5], -1
	s_cbranch_scc0 .LBB2_106
; %bb.105:                              ;   in Loop: Header=BB2_82 Depth=1
	s_add_u32 s8, s36, 0x1000
	s_addc_u32 s9, s37, 0
	s_getpc_b64 s[16:17]
	s_add_u32 s16, s16, _Z54ncclDevFunc_AllReduce_RING_SIMPLE_SumPostDiv_u64_0_0_4v@rel32@lo+4
	s_addc_u32 s17, s17, _Z54ncclDevFunc_AllReduce_RING_SIMPLE_SumPostDiv_u64_0_0_4v@rel32@hi+12
	s_mov_b64 s[4:5], s[48:49]
	s_mov_b64 s[6:7], s[38:39]
	;; [unrolled: 1-line block ×3, first 2 shown]
	s_mov_b32 s12, s55
	s_mov_b32 s13, s54
	;; [unrolled: 1-line block ×3, first 2 shown]
	v_mov_b32_e32 v31, v40
	s_swappc_b64 s[30:31], s[16:17]
	s_mov_b64 s[4:5], 0
.LBB2_106:                              ;   in Loop: Header=BB2_82 Depth=1
	s_andn2_b64 vcc, exec, s[4:5]
	s_cbranch_vccnz .LBB2_108
; %bb.107:                              ;   in Loop: Header=BB2_82 Depth=1
	s_add_u32 s8, s36, 0x1000
	s_addc_u32 s9, s37, 0
	s_getpc_b64 s[16:17]
	s_add_u32 s16, s16, _Z54ncclDevFunc_AllReduce_RING_SIMPLE_SumPostDiv_u32_0_0_4v@rel32@lo+4
	s_addc_u32 s17, s17, _Z54ncclDevFunc_AllReduce_RING_SIMPLE_SumPostDiv_u32_0_0_4v@rel32@hi+12
	s_mov_b64 s[4:5], s[48:49]
	s_mov_b64 s[6:7], s[38:39]
	;; [unrolled: 1-line block ×3, first 2 shown]
	s_mov_b32 s12, s55
	s_mov_b32 s13, s54
	;; [unrolled: 1-line block ×3, first 2 shown]
	v_mov_b32_e32 v31, v40
	s_swappc_b64 s[30:31], s[16:17]
.LBB2_108:                              ;   in Loop: Header=BB2_82 Depth=1
	s_mov_b64 s[4:5], 0
.LBB2_109:                              ;   in Loop: Header=BB2_82 Depth=1
	s_andn2_b64 vcc, exec, s[4:5]
	s_cbranch_vccnz .LBB2_117
; %bb.110:                              ;   in Loop: Header=BB2_82 Depth=1
	s_cmpk_gt_u32 s71, 0xa9
	s_mov_b64 s[4:5], -1
	s_cbranch_scc0 .LBB2_112
; %bb.111:                              ;   in Loop: Header=BB2_82 Depth=1
	s_add_u32 s8, s36, 0x1000
	s_addc_u32 s9, s37, 0
	s_getpc_b64 s[16:17]
	s_add_u32 s16, s16, _Z53ncclDevFunc_AllReduce_RING_SIMPLE_SumPostDiv_u8_0_0_4v@rel32@lo+4
	s_addc_u32 s17, s17, _Z53ncclDevFunc_AllReduce_RING_SIMPLE_SumPostDiv_u8_0_0_4v@rel32@hi+12
	s_mov_b64 s[4:5], s[48:49]
	s_mov_b64 s[6:7], s[38:39]
	;; [unrolled: 1-line block ×3, first 2 shown]
	s_mov_b32 s12, s55
	s_mov_b32 s13, s54
	;; [unrolled: 1-line block ×3, first 2 shown]
	v_mov_b32_e32 v31, v40
	s_swappc_b64 s[30:31], s[16:17]
	s_mov_b64 s[4:5], 0
.LBB2_112:                              ;   in Loop: Header=BB2_82 Depth=1
	s_andn2_b64 vcc, exec, s[4:5]
	s_cbranch_vccnz .LBB2_117
; %bb.113:                              ;   in Loop: Header=BB2_82 Depth=1
	s_cmpk_lg_i32 s71, 0xa7
	s_mov_b64 s[4:5], -1
	s_cbranch_scc0 .LBB2_115
; %bb.114:                              ;   in Loop: Header=BB2_82 Depth=1
	s_add_u32 s8, s36, 0x1000
	s_addc_u32 s9, s37, 0
	s_getpc_b64 s[16:17]
	s_add_u32 s16, s16, _Z56ncclDevFunc_AllReduce_RING_SIMPLE_PreMulSum_f8e5m2_0_0_4v@rel32@lo+4
	s_addc_u32 s17, s17, _Z56ncclDevFunc_AllReduce_RING_SIMPLE_PreMulSum_f8e5m2_0_0_4v@rel32@hi+12
	s_mov_b64 s[4:5], s[48:49]
	s_mov_b64 s[6:7], s[38:39]
	;; [unrolled: 1-line block ×3, first 2 shown]
	s_mov_b32 s12, s55
	s_mov_b32 s13, s54
	;; [unrolled: 1-line block ×3, first 2 shown]
	v_mov_b32_e32 v31, v40
	s_swappc_b64 s[30:31], s[16:17]
	s_mov_b64 s[4:5], 0
.LBB2_115:                              ;   in Loop: Header=BB2_82 Depth=1
	s_andn2_b64 vcc, exec, s[4:5]
	s_cbranch_vccnz .LBB2_117
; %bb.116:                              ;   in Loop: Header=BB2_82 Depth=1
	s_add_u32 s8, s36, 0x1000
	s_addc_u32 s9, s37, 0
	s_getpc_b64 s[16:17]
	s_add_u32 s16, s16, _Z56ncclDevFunc_AllReduce_RING_SIMPLE_PreMulSum_f8e4m3_0_0_4v@rel32@lo+4
	s_addc_u32 s17, s17, _Z56ncclDevFunc_AllReduce_RING_SIMPLE_PreMulSum_f8e4m3_0_0_4v@rel32@hi+12
	s_mov_b64 s[4:5], s[48:49]
	s_mov_b64 s[6:7], s[38:39]
	;; [unrolled: 1-line block ×3, first 2 shown]
	s_mov_b32 s12, s55
	s_mov_b32 s13, s54
	s_mov_b32 s14, s33
	v_mov_b32_e32 v31, v40
	s_swappc_b64 s[30:31], s[16:17]
.LBB2_117:                              ;   in Loop: Header=BB2_82 Depth=1
	s_mov_b64 s[4:5], 0
.LBB2_118:                              ;   in Loop: Header=BB2_82 Depth=1
	s_andn2_b64 vcc, exec, s[4:5]
	s_cbranch_vccnz .LBB2_133
; %bb.119:                              ;   in Loop: Header=BB2_82 Depth=1
	s_cmpk_gt_u32 s71, 0xa0
	s_mov_b64 s[4:5], -1
	s_cbranch_scc0 .LBB2_128
; %bb.120:                              ;   in Loop: Header=BB2_82 Depth=1
	s_cmpk_gt_u32 s71, 0xa3
	s_cbranch_scc0 .LBB2_122
; %bb.121:                              ;   in Loop: Header=BB2_82 Depth=1
	s_add_u32 s8, s36, 0x1000
	s_addc_u32 s9, s37, 0
	s_getpc_b64 s[16:17]
	s_add_u32 s16, s16, _Z54ncclDevFunc_AllReduce_RING_SIMPLE_PreMulSum_bf16_0_1_4v@rel32@lo+4
	s_addc_u32 s17, s17, _Z54ncclDevFunc_AllReduce_RING_SIMPLE_PreMulSum_bf16_0_1_4v@rel32@hi+12
	s_mov_b64 s[4:5], s[48:49]
	s_mov_b64 s[6:7], s[38:39]
	;; [unrolled: 1-line block ×3, first 2 shown]
	s_mov_b32 s12, s55
	s_mov_b32 s13, s54
	;; [unrolled: 1-line block ×3, first 2 shown]
	v_mov_b32_e32 v31, v40
	s_swappc_b64 s[30:31], s[16:17]
	s_mov_b64 s[4:5], 0
.LBB2_122:                              ;   in Loop: Header=BB2_82 Depth=1
	s_andn2_b64 vcc, exec, s[4:5]
	s_cbranch_vccnz .LBB2_127
; %bb.123:                              ;   in Loop: Header=BB2_82 Depth=1
	s_cmpk_lg_i32 s71, 0xa1
	s_mov_b64 s[4:5], -1
	s_cbranch_scc0 .LBB2_125
; %bb.124:                              ;   in Loop: Header=BB2_82 Depth=1
	s_add_u32 s8, s36, 0x1000
	s_addc_u32 s9, s37, 0
	s_getpc_b64 s[16:17]
	s_add_u32 s16, s16, _Z54ncclDevFunc_AllReduce_RING_SIMPLE_PreMulSum_bf16_0_0_4v@rel32@lo+4
	s_addc_u32 s17, s17, _Z54ncclDevFunc_AllReduce_RING_SIMPLE_PreMulSum_bf16_0_0_4v@rel32@hi+12
	s_mov_b64 s[4:5], s[48:49]
	s_mov_b64 s[6:7], s[38:39]
	;; [unrolled: 1-line block ×3, first 2 shown]
	s_mov_b32 s12, s55
	s_mov_b32 s13, s54
	;; [unrolled: 1-line block ×3, first 2 shown]
	v_mov_b32_e32 v31, v40
	s_swappc_b64 s[30:31], s[16:17]
	s_mov_b64 s[4:5], 0
.LBB2_125:                              ;   in Loop: Header=BB2_82 Depth=1
	s_andn2_b64 vcc, exec, s[4:5]
	s_cbranch_vccnz .LBB2_127
; %bb.126:                              ;   in Loop: Header=BB2_82 Depth=1
	s_add_u32 s8, s36, 0x1000
	s_addc_u32 s9, s37, 0
	s_getpc_b64 s[16:17]
	s_add_u32 s16, s16, _Z53ncclDevFunc_AllReduce_RING_SIMPLE_PreMulSum_f64_0_0_4v@rel32@lo+4
	s_addc_u32 s17, s17, _Z53ncclDevFunc_AllReduce_RING_SIMPLE_PreMulSum_f64_0_0_4v@rel32@hi+12
	s_mov_b64 s[4:5], s[48:49]
	s_mov_b64 s[6:7], s[38:39]
	;; [unrolled: 1-line block ×3, first 2 shown]
	s_mov_b32 s12, s55
	s_mov_b32 s13, s54
	;; [unrolled: 1-line block ×3, first 2 shown]
	v_mov_b32_e32 v31, v40
	s_swappc_b64 s[30:31], s[16:17]
.LBB2_127:                              ;   in Loop: Header=BB2_82 Depth=1
	s_mov_b64 s[4:5], 0
.LBB2_128:                              ;   in Loop: Header=BB2_82 Depth=1
	s_andn2_b64 vcc, exec, s[4:5]
	s_cbranch_vccnz .LBB2_133
; %bb.129:                              ;   in Loop: Header=BB2_82 Depth=1
	s_cmpk_gt_u32 s71, 0x9d
	s_mov_b64 s[4:5], -1
	s_cbranch_scc0 .LBB2_131
; %bb.130:                              ;   in Loop: Header=BB2_82 Depth=1
	s_add_u32 s8, s36, 0x1000
	s_addc_u32 s9, s37, 0
	s_getpc_b64 s[16:17]
	s_add_u32 s16, s16, _Z53ncclDevFunc_AllReduce_RING_SIMPLE_PreMulSum_f32_0_0_4v@rel32@lo+4
	s_addc_u32 s17, s17, _Z53ncclDevFunc_AllReduce_RING_SIMPLE_PreMulSum_f32_0_0_4v@rel32@hi+12
	s_mov_b64 s[4:5], s[48:49]
	s_mov_b64 s[6:7], s[38:39]
	s_mov_b64 s[10:11], s[34:35]
	s_mov_b32 s12, s55
	s_mov_b32 s13, s54
	;; [unrolled: 1-line block ×3, first 2 shown]
	v_mov_b32_e32 v31, v40
	s_swappc_b64 s[30:31], s[16:17]
	s_mov_b64 s[4:5], 0
.LBB2_131:                              ;   in Loop: Header=BB2_82 Depth=1
	s_andn2_b64 vcc, exec, s[4:5]
	s_cbranch_vccnz .LBB2_133
; %bb.132:                              ;   in Loop: Header=BB2_82 Depth=1
	s_add_u32 s8, s36, 0x1000
	s_addc_u32 s9, s37, 0
	s_getpc_b64 s[16:17]
	s_add_u32 s16, s16, _Z53ncclDevFunc_AllReduce_RING_SIMPLE_PreMulSum_f16_0_0_4v@rel32@lo+4
	s_addc_u32 s17, s17, _Z53ncclDevFunc_AllReduce_RING_SIMPLE_PreMulSum_f16_0_0_4v@rel32@hi+12
	s_mov_b64 s[4:5], s[48:49]
	s_mov_b64 s[6:7], s[38:39]
	;; [unrolled: 1-line block ×3, first 2 shown]
	s_mov_b32 s12, s55
	s_mov_b32 s13, s54
	;; [unrolled: 1-line block ×3, first 2 shown]
	v_mov_b32_e32 v31, v40
	s_swappc_b64 s[30:31], s[16:17]
.LBB2_133:                              ;   in Loop: Header=BB2_82 Depth=1
	s_mov_b64 s[4:5], 0
.LBB2_134:                              ;   in Loop: Header=BB2_82 Depth=1
	s_andn2_b64 vcc, exec, s[4:5]
	s_cbranch_vccnz .LBB2_171
; %bb.135:                              ;   in Loop: Header=BB2_82 Depth=1
	s_cmpk_gt_u32 s71, 0x90
	s_mov_b64 s[4:5], -1
	s_cbranch_scc0 .LBB2_152
; %bb.136:                              ;   in Loop: Header=BB2_82 Depth=1
	s_cmpk_gt_u32 s71, 0x95
	s_cbranch_scc0 .LBB2_146
; %bb.137:                              ;   in Loop: Header=BB2_82 Depth=1
	s_cmpk_gt_u32 s71, 0x98
	s_cbranch_scc0 .LBB2_143
; %bb.138:                              ;   in Loop: Header=BB2_82 Depth=1
	s_cmpk_lg_i32 s71, 0x99
	s_cbranch_scc0 .LBB2_140
; %bb.139:                              ;   in Loop: Header=BB2_82 Depth=1
	s_add_u32 s8, s36, 0x1000
	s_addc_u32 s9, s37, 0
	s_getpc_b64 s[16:17]
	s_add_u32 s16, s16, _Z53ncclDevFunc_AllReduce_RING_SIMPLE_PreMulSum_u64_0_0_4v@rel32@lo+4
	s_addc_u32 s17, s17, _Z53ncclDevFunc_AllReduce_RING_SIMPLE_PreMulSum_u64_0_0_4v@rel32@hi+12
	s_mov_b64 s[4:5], s[48:49]
	s_mov_b64 s[6:7], s[38:39]
	;; [unrolled: 1-line block ×3, first 2 shown]
	s_mov_b32 s12, s55
	s_mov_b32 s13, s54
	s_mov_b32 s14, s33
	v_mov_b32_e32 v31, v40
	s_swappc_b64 s[30:31], s[16:17]
	s_mov_b64 s[4:5], 0
.LBB2_140:                              ;   in Loop: Header=BB2_82 Depth=1
	s_andn2_b64 vcc, exec, s[4:5]
	s_cbranch_vccnz .LBB2_142
; %bb.141:                              ;   in Loop: Header=BB2_82 Depth=1
	s_add_u32 s8, s36, 0x1000
	s_addc_u32 s9, s37, 0
	s_getpc_b64 s[16:17]
	s_add_u32 s16, s16, _Z53ncclDevFunc_AllReduce_RING_SIMPLE_PreMulSum_u32_0_0_4v@rel32@lo+4
	s_addc_u32 s17, s17, _Z53ncclDevFunc_AllReduce_RING_SIMPLE_PreMulSum_u32_0_0_4v@rel32@hi+12
	s_mov_b64 s[4:5], s[48:49]
	s_mov_b64 s[6:7], s[38:39]
	;; [unrolled: 1-line block ×3, first 2 shown]
	s_mov_b32 s12, s55
	s_mov_b32 s13, s54
	s_mov_b32 s14, s33
	v_mov_b32_e32 v31, v40
	s_swappc_b64 s[30:31], s[16:17]
.LBB2_142:                              ;   in Loop: Header=BB2_82 Depth=1
	s_mov_b64 s[4:5], 0
.LBB2_143:                              ;   in Loop: Header=BB2_82 Depth=1
	s_andn2_b64 vcc, exec, s[4:5]
	s_cbranch_vccnz .LBB2_145
; %bb.144:                              ;   in Loop: Header=BB2_82 Depth=1
	s_add_u32 s8, s36, 0x1000
	s_addc_u32 s9, s37, 0
	s_getpc_b64 s[16:17]
	s_add_u32 s16, s16, _Z52ncclDevFunc_AllReduce_RING_SIMPLE_PreMulSum_u8_0_0_4v@rel32@lo+4
	s_addc_u32 s17, s17, _Z52ncclDevFunc_AllReduce_RING_SIMPLE_PreMulSum_u8_0_0_4v@rel32@hi+12
	s_mov_b64 s[4:5], s[48:49]
	s_mov_b64 s[6:7], s[38:39]
	;; [unrolled: 1-line block ×3, first 2 shown]
	s_mov_b32 s12, s55
	s_mov_b32 s13, s54
	;; [unrolled: 1-line block ×3, first 2 shown]
	v_mov_b32_e32 v31, v40
	s_swappc_b64 s[30:31], s[16:17]
.LBB2_145:                              ;   in Loop: Header=BB2_82 Depth=1
	s_mov_b64 s[4:5], 0
.LBB2_146:                              ;   in Loop: Header=BB2_82 Depth=1
	s_andn2_b64 vcc, exec, s[4:5]
	s_cbranch_vccnz .LBB2_151
; %bb.147:                              ;   in Loop: Header=BB2_82 Depth=1
	s_cmpk_gt_u32 s71, 0x93
	s_mov_b64 s[4:5], -1
	s_cbranch_scc0 .LBB2_149
; %bb.148:                              ;   in Loop: Header=BB2_82 Depth=1
	s_add_u32 s8, s36, 0x1000
	s_addc_u32 s9, s37, 0
	s_getpc_b64 s[16:17]
	s_add_u32 s16, s16, _Z53ncclDevFunc_AllReduce_RING_SIMPLE_MinMax_f8e5m2_0_0_4v@rel32@lo+4
	s_addc_u32 s17, s17, _Z53ncclDevFunc_AllReduce_RING_SIMPLE_MinMax_f8e5m2_0_0_4v@rel32@hi+12
	s_mov_b64 s[4:5], s[48:49]
	s_mov_b64 s[6:7], s[38:39]
	;; [unrolled: 1-line block ×3, first 2 shown]
	s_mov_b32 s12, s55
	s_mov_b32 s13, s54
	;; [unrolled: 1-line block ×3, first 2 shown]
	v_mov_b32_e32 v31, v40
	s_swappc_b64 s[30:31], s[16:17]
	s_mov_b64 s[4:5], 0
.LBB2_149:                              ;   in Loop: Header=BB2_82 Depth=1
	s_andn2_b64 vcc, exec, s[4:5]
	s_cbranch_vccnz .LBB2_151
; %bb.150:                              ;   in Loop: Header=BB2_82 Depth=1
	s_add_u32 s8, s36, 0x1000
	s_addc_u32 s9, s37, 0
	s_getpc_b64 s[16:17]
	s_add_u32 s16, s16, _Z53ncclDevFunc_AllReduce_RING_SIMPLE_MinMax_f8e4m3_0_0_4v@rel32@lo+4
	s_addc_u32 s17, s17, _Z53ncclDevFunc_AllReduce_RING_SIMPLE_MinMax_f8e4m3_0_0_4v@rel32@hi+12
	s_mov_b64 s[4:5], s[48:49]
	s_mov_b64 s[6:7], s[38:39]
	;; [unrolled: 1-line block ×3, first 2 shown]
	s_mov_b32 s12, s55
	s_mov_b32 s13, s54
	;; [unrolled: 1-line block ×3, first 2 shown]
	v_mov_b32_e32 v31, v40
	s_swappc_b64 s[30:31], s[16:17]
.LBB2_151:                              ;   in Loop: Header=BB2_82 Depth=1
	s_mov_b64 s[4:5], 0
.LBB2_152:                              ;   in Loop: Header=BB2_82 Depth=1
	s_andn2_b64 vcc, exec, s[4:5]
	s_cbranch_vccnz .LBB2_171
; %bb.153:                              ;   in Loop: Header=BB2_82 Depth=1
	s_cmpk_gt_u32 s71, 0x8a
	s_mov_b64 s[4:5], -1
	s_cbranch_scc0 .LBB2_166
; %bb.154:                              ;   in Loop: Header=BB2_82 Depth=1
	s_cmpk_gt_u32 s71, 0x8d
	s_cbranch_scc0 .LBB2_160
; %bb.155:                              ;   in Loop: Header=BB2_82 Depth=1
	s_cmpk_eq_i32 s71, 0x90
	s_cbranch_scc1 .LBB2_157
; %bb.156:                              ;   in Loop: Header=BB2_82 Depth=1
	s_add_u32 s8, s36, 0x1000
	s_addc_u32 s9, s37, 0
	s_getpc_b64 s[16:17]
	s_add_u32 s16, s16, _Z51ncclDevFunc_AllReduce_RING_SIMPLE_MinMax_bf16_0_0_4v@rel32@lo+4
	s_addc_u32 s17, s17, _Z51ncclDevFunc_AllReduce_RING_SIMPLE_MinMax_bf16_0_0_4v@rel32@hi+12
	s_mov_b64 s[4:5], s[48:49]
	s_mov_b64 s[6:7], s[38:39]
	;; [unrolled: 1-line block ×3, first 2 shown]
	s_mov_b32 s12, s55
	s_mov_b32 s13, s54
	;; [unrolled: 1-line block ×3, first 2 shown]
	v_mov_b32_e32 v31, v40
	s_swappc_b64 s[30:31], s[16:17]
	s_mov_b64 s[4:5], 0
.LBB2_157:                              ;   in Loop: Header=BB2_82 Depth=1
	s_andn2_b64 vcc, exec, s[4:5]
	s_cbranch_vccnz .LBB2_159
; %bb.158:                              ;   in Loop: Header=BB2_82 Depth=1
	s_add_u32 s8, s36, 0x1000
	s_addc_u32 s9, s37, 0
	s_getpc_b64 s[16:17]
	s_add_u32 s16, s16, _Z51ncclDevFunc_AllReduce_RING_SIMPLE_MinMax_bf16_0_1_4v@rel32@lo+4
	s_addc_u32 s17, s17, _Z51ncclDevFunc_AllReduce_RING_SIMPLE_MinMax_bf16_0_1_4v@rel32@hi+12
	s_mov_b64 s[4:5], s[48:49]
	s_mov_b64 s[6:7], s[38:39]
	;; [unrolled: 1-line block ×3, first 2 shown]
	s_mov_b32 s12, s55
	s_mov_b32 s13, s54
	;; [unrolled: 1-line block ×3, first 2 shown]
	v_mov_b32_e32 v31, v40
	s_swappc_b64 s[30:31], s[16:17]
.LBB2_159:                              ;   in Loop: Header=BB2_82 Depth=1
	s_mov_b64 s[4:5], 0
.LBB2_160:                              ;   in Loop: Header=BB2_82 Depth=1
	s_andn2_b64 vcc, exec, s[4:5]
	s_cbranch_vccnz .LBB2_165
; %bb.161:                              ;   in Loop: Header=BB2_82 Depth=1
	s_cmpk_lg_i32 s71, 0x8b
	s_mov_b64 s[4:5], -1
	s_cbranch_scc0 .LBB2_163
; %bb.162:                              ;   in Loop: Header=BB2_82 Depth=1
	s_add_u32 s8, s36, 0x1000
	s_addc_u32 s9, s37, 0
	s_getpc_b64 s[16:17]
	s_add_u32 s16, s16, _Z50ncclDevFunc_AllReduce_RING_SIMPLE_MinMax_f64_0_0_4v@rel32@lo+4
	s_addc_u32 s17, s17, _Z50ncclDevFunc_AllReduce_RING_SIMPLE_MinMax_f64_0_0_4v@rel32@hi+12
	s_mov_b64 s[4:5], s[48:49]
	s_mov_b64 s[6:7], s[38:39]
	;; [unrolled: 1-line block ×3, first 2 shown]
	s_mov_b32 s12, s55
	s_mov_b32 s13, s54
	;; [unrolled: 1-line block ×3, first 2 shown]
	v_mov_b32_e32 v31, v40
	s_swappc_b64 s[30:31], s[16:17]
	s_mov_b64 s[4:5], 0
.LBB2_163:                              ;   in Loop: Header=BB2_82 Depth=1
	s_andn2_b64 vcc, exec, s[4:5]
	s_cbranch_vccnz .LBB2_165
; %bb.164:                              ;   in Loop: Header=BB2_82 Depth=1
	s_add_u32 s8, s36, 0x1000
	s_addc_u32 s9, s37, 0
	s_getpc_b64 s[16:17]
	s_add_u32 s16, s16, _Z50ncclDevFunc_AllReduce_RING_SIMPLE_MinMax_f32_0_0_4v@rel32@lo+4
	s_addc_u32 s17, s17, _Z50ncclDevFunc_AllReduce_RING_SIMPLE_MinMax_f32_0_0_4v@rel32@hi+12
	s_mov_b64 s[4:5], s[48:49]
	s_mov_b64 s[6:7], s[38:39]
	;; [unrolled: 1-line block ×3, first 2 shown]
	s_mov_b32 s12, s55
	s_mov_b32 s13, s54
	;; [unrolled: 1-line block ×3, first 2 shown]
	v_mov_b32_e32 v31, v40
	s_swappc_b64 s[30:31], s[16:17]
.LBB2_165:                              ;   in Loop: Header=BB2_82 Depth=1
	s_mov_b64 s[4:5], 0
.LBB2_166:                              ;   in Loop: Header=BB2_82 Depth=1
	s_andn2_b64 vcc, exec, s[4:5]
	s_cbranch_vccnz .LBB2_171
; %bb.167:                              ;   in Loop: Header=BB2_82 Depth=1
	s_cmpk_gt_u32 s71, 0x87
	s_mov_b64 s[4:5], -1
	s_cbranch_scc0 .LBB2_169
; %bb.168:                              ;   in Loop: Header=BB2_82 Depth=1
	s_add_u32 s8, s36, 0x1000
	s_addc_u32 s9, s37, 0
	s_getpc_b64 s[16:17]
	s_add_u32 s16, s16, _Z50ncclDevFunc_AllReduce_RING_SIMPLE_MinMax_f16_0_0_4v@rel32@lo+4
	s_addc_u32 s17, s17, _Z50ncclDevFunc_AllReduce_RING_SIMPLE_MinMax_f16_0_0_4v@rel32@hi+12
	s_mov_b64 s[4:5], s[48:49]
	s_mov_b64 s[6:7], s[38:39]
	s_mov_b64 s[10:11], s[34:35]
	s_mov_b32 s12, s55
	s_mov_b32 s13, s54
	s_mov_b32 s14, s33
	v_mov_b32_e32 v31, v40
	s_swappc_b64 s[30:31], s[16:17]
	s_mov_b64 s[4:5], 0
.LBB2_169:                              ;   in Loop: Header=BB2_82 Depth=1
	s_andn2_b64 vcc, exec, s[4:5]
	s_cbranch_vccnz .LBB2_171
; %bb.170:                              ;   in Loop: Header=BB2_82 Depth=1
	s_add_u32 s8, s36, 0x1000
	s_addc_u32 s9, s37, 0
	s_getpc_b64 s[16:17]
	s_add_u32 s16, s16, _Z50ncclDevFunc_AllReduce_RING_SIMPLE_MinMax_u64_0_0_4v@rel32@lo+4
	s_addc_u32 s17, s17, _Z50ncclDevFunc_AllReduce_RING_SIMPLE_MinMax_u64_0_0_4v@rel32@hi+12
	s_mov_b64 s[4:5], s[48:49]
	s_mov_b64 s[6:7], s[38:39]
	;; [unrolled: 1-line block ×3, first 2 shown]
	s_mov_b32 s12, s55
	s_mov_b32 s13, s54
	;; [unrolled: 1-line block ×3, first 2 shown]
	v_mov_b32_e32 v31, v40
	s_swappc_b64 s[30:31], s[16:17]
.LBB2_171:                              ;   in Loop: Header=BB2_82 Depth=1
	s_mov_b64 s[4:5], 0
.LBB2_172:                              ;   in Loop: Header=BB2_82 Depth=1
	s_andn2_b64 vcc, exec, s[4:5]
	s_cbranch_vccnz .LBB2_256
; %bb.173:                              ;   in Loop: Header=BB2_82 Depth=1
	s_cmpk_gt_u32 s71, 0x6e
	s_mov_b64 s[4:5], -1
	s_cbranch_scc0 .LBB2_215
; %bb.174:                              ;   in Loop: Header=BB2_82 Depth=1
	s_cmpk_gt_u32 s71, 0x79
	s_cbranch_scc0 .LBB2_194
; %bb.175:                              ;   in Loop: Header=BB2_82 Depth=1
	s_cmpk_gt_u32 s71, 0x7f
	;; [unrolled: 3-line block ×3, first 2 shown]
	s_cbranch_scc0 .LBB2_182
; %bb.177:                              ;   in Loop: Header=BB2_82 Depth=1
	s_cmpk_lg_i32 s71, 0x83
	s_cbranch_scc0 .LBB2_179
; %bb.178:                              ;   in Loop: Header=BB2_82 Depth=1
	s_add_u32 s8, s36, 0x1000
	s_addc_u32 s9, s37, 0
	s_getpc_b64 s[16:17]
	s_add_u32 s16, s16, _Z50ncclDevFunc_AllReduce_RING_SIMPLE_MinMax_u32_0_0_4v@rel32@lo+4
	s_addc_u32 s17, s17, _Z50ncclDevFunc_AllReduce_RING_SIMPLE_MinMax_u32_0_0_4v@rel32@hi+12
	s_mov_b64 s[4:5], s[48:49]
	s_mov_b64 s[6:7], s[38:39]
	;; [unrolled: 1-line block ×3, first 2 shown]
	s_mov_b32 s12, s55
	s_mov_b32 s13, s54
	;; [unrolled: 1-line block ×3, first 2 shown]
	v_mov_b32_e32 v31, v40
	s_swappc_b64 s[30:31], s[16:17]
	s_mov_b64 s[4:5], 0
.LBB2_179:                              ;   in Loop: Header=BB2_82 Depth=1
	s_andn2_b64 vcc, exec, s[4:5]
	s_cbranch_vccnz .LBB2_181
; %bb.180:                              ;   in Loop: Header=BB2_82 Depth=1
	s_add_u32 s8, s36, 0x1000
	s_addc_u32 s9, s37, 0
	s_getpc_b64 s[16:17]
	s_add_u32 s16, s16, _Z49ncclDevFunc_AllReduce_RING_SIMPLE_MinMax_u8_0_0_4v@rel32@lo+4
	s_addc_u32 s17, s17, _Z49ncclDevFunc_AllReduce_RING_SIMPLE_MinMax_u8_0_0_4v@rel32@hi+12
	s_mov_b64 s[4:5], s[48:49]
	s_mov_b64 s[6:7], s[38:39]
	;; [unrolled: 1-line block ×3, first 2 shown]
	s_mov_b32 s12, s55
	s_mov_b32 s13, s54
	;; [unrolled: 1-line block ×3, first 2 shown]
	v_mov_b32_e32 v31, v40
	s_swappc_b64 s[30:31], s[16:17]
.LBB2_181:                              ;   in Loop: Header=BB2_82 Depth=1
	s_mov_b64 s[4:5], 0
.LBB2_182:                              ;   in Loop: Header=BB2_82 Depth=1
	s_andn2_b64 vcc, exec, s[4:5]
	s_cbranch_vccnz .LBB2_184
; %bb.183:                              ;   in Loop: Header=BB2_82 Depth=1
	s_add_u32 s8, s36, 0x1000
	s_addc_u32 s9, s37, 0
	s_getpc_b64 s[16:17]
	s_add_u32 s16, s16, _Z51ncclDevFunc_AllReduce_RING_SIMPLE_Prod_f8e5m2_0_0_4v@rel32@lo+4
	s_addc_u32 s17, s17, _Z51ncclDevFunc_AllReduce_RING_SIMPLE_Prod_f8e5m2_0_0_4v@rel32@hi+12
	s_mov_b64 s[4:5], s[48:49]
	s_mov_b64 s[6:7], s[38:39]
	;; [unrolled: 1-line block ×3, first 2 shown]
	s_mov_b32 s12, s55
	s_mov_b32 s13, s54
	;; [unrolled: 1-line block ×3, first 2 shown]
	v_mov_b32_e32 v31, v40
	s_swappc_b64 s[30:31], s[16:17]
.LBB2_184:                              ;   in Loop: Header=BB2_82 Depth=1
	s_mov_b64 s[4:5], 0
.LBB2_185:                              ;   in Loop: Header=BB2_82 Depth=1
	s_andn2_b64 vcc, exec, s[4:5]
	s_cbranch_vccnz .LBB2_193
; %bb.186:                              ;   in Loop: Header=BB2_82 Depth=1
	s_cmpk_gt_u32 s71, 0x7c
	s_mov_b64 s[4:5], -1
	s_cbranch_scc0 .LBB2_188
; %bb.187:                              ;   in Loop: Header=BB2_82 Depth=1
	s_add_u32 s8, s36, 0x1000
	s_addc_u32 s9, s37, 0
	s_getpc_b64 s[16:17]
	s_add_u32 s16, s16, _Z51ncclDevFunc_AllReduce_RING_SIMPLE_Prod_f8e4m3_0_0_4v@rel32@lo+4
	s_addc_u32 s17, s17, _Z51ncclDevFunc_AllReduce_RING_SIMPLE_Prod_f8e4m3_0_0_4v@rel32@hi+12
	s_mov_b64 s[4:5], s[48:49]
	s_mov_b64 s[6:7], s[38:39]
	s_mov_b64 s[10:11], s[34:35]
	s_mov_b32 s12, s55
	s_mov_b32 s13, s54
	;; [unrolled: 1-line block ×3, first 2 shown]
	v_mov_b32_e32 v31, v40
	s_swappc_b64 s[30:31], s[16:17]
	s_mov_b64 s[4:5], 0
.LBB2_188:                              ;   in Loop: Header=BB2_82 Depth=1
	s_andn2_b64 vcc, exec, s[4:5]
	s_cbranch_vccnz .LBB2_193
; %bb.189:                              ;   in Loop: Header=BB2_82 Depth=1
	s_cmpk_eq_i32 s71, 0x7c
	s_mov_b64 s[4:5], -1
	s_cbranch_scc1 .LBB2_191
; %bb.190:                              ;   in Loop: Header=BB2_82 Depth=1
	s_add_u32 s8, s36, 0x1000
	s_addc_u32 s9, s37, 0
	s_getpc_b64 s[16:17]
	s_add_u32 s16, s16, _Z49ncclDevFunc_AllReduce_RING_SIMPLE_Prod_bf16_0_0_4v@rel32@lo+4
	s_addc_u32 s17, s17, _Z49ncclDevFunc_AllReduce_RING_SIMPLE_Prod_bf16_0_0_4v@rel32@hi+12
	s_mov_b64 s[4:5], s[48:49]
	s_mov_b64 s[6:7], s[38:39]
	;; [unrolled: 1-line block ×3, first 2 shown]
	s_mov_b32 s12, s55
	s_mov_b32 s13, s54
	;; [unrolled: 1-line block ×3, first 2 shown]
	v_mov_b32_e32 v31, v40
	s_swappc_b64 s[30:31], s[16:17]
	s_mov_b64 s[4:5], 0
.LBB2_191:                              ;   in Loop: Header=BB2_82 Depth=1
	s_andn2_b64 vcc, exec, s[4:5]
	s_cbranch_vccnz .LBB2_193
; %bb.192:                              ;   in Loop: Header=BB2_82 Depth=1
	s_add_u32 s8, s36, 0x1000
	s_addc_u32 s9, s37, 0
	s_getpc_b64 s[16:17]
	s_add_u32 s16, s16, _Z49ncclDevFunc_AllReduce_RING_SIMPLE_Prod_bf16_0_1_4v@rel32@lo+4
	s_addc_u32 s17, s17, _Z49ncclDevFunc_AllReduce_RING_SIMPLE_Prod_bf16_0_1_4v@rel32@hi+12
	s_mov_b64 s[4:5], s[48:49]
	s_mov_b64 s[6:7], s[38:39]
	;; [unrolled: 1-line block ×3, first 2 shown]
	s_mov_b32 s12, s55
	s_mov_b32 s13, s54
	;; [unrolled: 1-line block ×3, first 2 shown]
	v_mov_b32_e32 v31, v40
	s_swappc_b64 s[30:31], s[16:17]
.LBB2_193:                              ;   in Loop: Header=BB2_82 Depth=1
	s_mov_b64 s[4:5], 0
.LBB2_194:                              ;   in Loop: Header=BB2_82 Depth=1
	s_andn2_b64 vcc, exec, s[4:5]
	s_cbranch_vccnz .LBB2_214
; %bb.195:                              ;   in Loop: Header=BB2_82 Depth=1
	s_cmpk_gt_u32 s71, 0x73
	s_mov_b64 s[4:5], -1
	s_cbranch_scc0 .LBB2_205
; %bb.196:                              ;   in Loop: Header=BB2_82 Depth=1
	s_cmpk_gt_u32 s71, 0x76
	s_cbranch_scc0 .LBB2_202
; %bb.197:                              ;   in Loop: Header=BB2_82 Depth=1
	s_cmpk_lg_i32 s71, 0x77
	s_cbranch_scc0 .LBB2_199
; %bb.198:                              ;   in Loop: Header=BB2_82 Depth=1
	s_add_u32 s8, s36, 0x1000
	s_addc_u32 s9, s37, 0
	s_getpc_b64 s[16:17]
	s_add_u32 s16, s16, _Z48ncclDevFunc_AllReduce_RING_SIMPLE_Prod_f64_0_0_4v@rel32@lo+4
	s_addc_u32 s17, s17, _Z48ncclDevFunc_AllReduce_RING_SIMPLE_Prod_f64_0_0_4v@rel32@hi+12
	s_mov_b64 s[4:5], s[48:49]
	s_mov_b64 s[6:7], s[38:39]
	;; [unrolled: 1-line block ×3, first 2 shown]
	s_mov_b32 s12, s55
	s_mov_b32 s13, s54
	;; [unrolled: 1-line block ×3, first 2 shown]
	v_mov_b32_e32 v31, v40
	s_swappc_b64 s[30:31], s[16:17]
	s_mov_b64 s[4:5], 0
.LBB2_199:                              ;   in Loop: Header=BB2_82 Depth=1
	s_andn2_b64 vcc, exec, s[4:5]
	s_cbranch_vccnz .LBB2_201
; %bb.200:                              ;   in Loop: Header=BB2_82 Depth=1
	s_add_u32 s8, s36, 0x1000
	s_addc_u32 s9, s37, 0
	s_getpc_b64 s[16:17]
	s_add_u32 s16, s16, _Z48ncclDevFunc_AllReduce_RING_SIMPLE_Prod_f32_0_0_4v@rel32@lo+4
	s_addc_u32 s17, s17, _Z48ncclDevFunc_AllReduce_RING_SIMPLE_Prod_f32_0_0_4v@rel32@hi+12
	s_mov_b64 s[4:5], s[48:49]
	s_mov_b64 s[6:7], s[38:39]
	;; [unrolled: 1-line block ×3, first 2 shown]
	s_mov_b32 s12, s55
	s_mov_b32 s13, s54
	;; [unrolled: 1-line block ×3, first 2 shown]
	v_mov_b32_e32 v31, v40
	s_swappc_b64 s[30:31], s[16:17]
.LBB2_201:                              ;   in Loop: Header=BB2_82 Depth=1
	s_mov_b64 s[4:5], 0
.LBB2_202:                              ;   in Loop: Header=BB2_82 Depth=1
	s_andn2_b64 vcc, exec, s[4:5]
	s_cbranch_vccnz .LBB2_204
; %bb.203:                              ;   in Loop: Header=BB2_82 Depth=1
	s_add_u32 s8, s36, 0x1000
	s_addc_u32 s9, s37, 0
	s_getpc_b64 s[16:17]
	s_add_u32 s16, s16, _Z48ncclDevFunc_AllReduce_RING_SIMPLE_Prod_f16_0_0_4v@rel32@lo+4
	s_addc_u32 s17, s17, _Z48ncclDevFunc_AllReduce_RING_SIMPLE_Prod_f16_0_0_4v@rel32@hi+12
	s_mov_b64 s[4:5], s[48:49]
	s_mov_b64 s[6:7], s[38:39]
	;; [unrolled: 1-line block ×3, first 2 shown]
	s_mov_b32 s12, s55
	s_mov_b32 s13, s54
	;; [unrolled: 1-line block ×3, first 2 shown]
	v_mov_b32_e32 v31, v40
	s_swappc_b64 s[30:31], s[16:17]
.LBB2_204:                              ;   in Loop: Header=BB2_82 Depth=1
	s_mov_b64 s[4:5], 0
.LBB2_205:                              ;   in Loop: Header=BB2_82 Depth=1
	s_andn2_b64 vcc, exec, s[4:5]
	s_cbranch_vccnz .LBB2_214
; %bb.206:                              ;   in Loop: Header=BB2_82 Depth=1
	s_cmpk_gt_u32 s71, 0x70
	s_mov_b64 s[4:5], -1
	s_cbranch_scc0 .LBB2_212
; %bb.207:                              ;   in Loop: Header=BB2_82 Depth=1
	s_cmpk_lg_i32 s71, 0x71
	s_cbranch_scc0 .LBB2_209
; %bb.208:                              ;   in Loop: Header=BB2_82 Depth=1
	s_add_u32 s8, s36, 0x1000
	s_addc_u32 s9, s37, 0
	s_getpc_b64 s[16:17]
	s_add_u32 s16, s16, _Z48ncclDevFunc_AllReduce_RING_SIMPLE_Prod_u64_0_0_4v@rel32@lo+4
	s_addc_u32 s17, s17, _Z48ncclDevFunc_AllReduce_RING_SIMPLE_Prod_u64_0_0_4v@rel32@hi+12
	s_mov_b64 s[4:5], s[48:49]
	s_mov_b64 s[6:7], s[38:39]
	;; [unrolled: 1-line block ×3, first 2 shown]
	s_mov_b32 s12, s55
	s_mov_b32 s13, s54
	;; [unrolled: 1-line block ×3, first 2 shown]
	v_mov_b32_e32 v31, v40
	s_swappc_b64 s[30:31], s[16:17]
	s_mov_b64 s[4:5], 0
.LBB2_209:                              ;   in Loop: Header=BB2_82 Depth=1
	s_andn2_b64 vcc, exec, s[4:5]
	s_cbranch_vccnz .LBB2_211
; %bb.210:                              ;   in Loop: Header=BB2_82 Depth=1
	s_add_u32 s8, s36, 0x1000
	s_addc_u32 s9, s37, 0
	s_getpc_b64 s[16:17]
	s_add_u32 s16, s16, _Z48ncclDevFunc_AllReduce_RING_SIMPLE_Prod_u32_0_0_4v@rel32@lo+4
	s_addc_u32 s17, s17, _Z48ncclDevFunc_AllReduce_RING_SIMPLE_Prod_u32_0_0_4v@rel32@hi+12
	s_mov_b64 s[4:5], s[48:49]
	s_mov_b64 s[6:7], s[38:39]
	;; [unrolled: 1-line block ×3, first 2 shown]
	s_mov_b32 s12, s55
	s_mov_b32 s13, s54
	;; [unrolled: 1-line block ×3, first 2 shown]
	v_mov_b32_e32 v31, v40
	s_swappc_b64 s[30:31], s[16:17]
.LBB2_211:                              ;   in Loop: Header=BB2_82 Depth=1
	s_mov_b64 s[4:5], 0
.LBB2_212:                              ;   in Loop: Header=BB2_82 Depth=1
	s_andn2_b64 vcc, exec, s[4:5]
	s_cbranch_vccnz .LBB2_214
; %bb.213:                              ;   in Loop: Header=BB2_82 Depth=1
	s_add_u32 s8, s36, 0x1000
	s_addc_u32 s9, s37, 0
	s_getpc_b64 s[16:17]
	s_add_u32 s16, s16, _Z47ncclDevFunc_AllReduce_RING_SIMPLE_Prod_u8_0_0_4v@rel32@lo+4
	s_addc_u32 s17, s17, _Z47ncclDevFunc_AllReduce_RING_SIMPLE_Prod_u8_0_0_4v@rel32@hi+12
	s_mov_b64 s[4:5], s[48:49]
	s_mov_b64 s[6:7], s[38:39]
	;; [unrolled: 1-line block ×3, first 2 shown]
	s_mov_b32 s12, s55
	s_mov_b32 s13, s54
	;; [unrolled: 1-line block ×3, first 2 shown]
	v_mov_b32_e32 v31, v40
	s_swappc_b64 s[30:31], s[16:17]
.LBB2_214:                              ;   in Loop: Header=BB2_82 Depth=1
	s_mov_b64 s[4:5], 0
.LBB2_215:                              ;   in Loop: Header=BB2_82 Depth=1
	s_andn2_b64 vcc, exec, s[4:5]
	s_cbranch_vccnz .LBB2_256
; %bb.216:                              ;   in Loop: Header=BB2_82 Depth=1
	s_cmpk_gt_u32 s71, 0x63
	s_mov_b64 s[4:5], -1
	s_cbranch_scc0 .LBB2_233
; %bb.217:                              ;   in Loop: Header=BB2_82 Depth=1
	s_cmpk_gt_u32 s71, 0x68
	s_cbranch_scc0 .LBB2_223
; %bb.218:                              ;   in Loop: Header=BB2_82 Depth=1
	s_cmpk_gt_u32 s71, 0x6b
	s_cbranch_scc0 .LBB2_220
; %bb.219:                              ;   in Loop: Header=BB2_82 Depth=1
	s_add_u32 s8, s36, 0x1000
	s_addc_u32 s9, s37, 0
	s_getpc_b64 s[16:17]
	s_add_u32 s16, s16, _Z50ncclDevFunc_AllReduce_RING_SIMPLE_Sum_f8e5m2_0_0_4v@rel32@lo+4
	s_addc_u32 s17, s17, _Z50ncclDevFunc_AllReduce_RING_SIMPLE_Sum_f8e5m2_0_0_4v@rel32@hi+12
	s_mov_b64 s[4:5], s[48:49]
	s_mov_b64 s[6:7], s[38:39]
	;; [unrolled: 1-line block ×3, first 2 shown]
	s_mov_b32 s12, s55
	s_mov_b32 s13, s54
	;; [unrolled: 1-line block ×3, first 2 shown]
	v_mov_b32_e32 v31, v40
	s_swappc_b64 s[30:31], s[16:17]
	s_mov_b64 s[4:5], 0
.LBB2_220:                              ;   in Loop: Header=BB2_82 Depth=1
	s_andn2_b64 vcc, exec, s[4:5]
	s_cbranch_vccnz .LBB2_222
; %bb.221:                              ;   in Loop: Header=BB2_82 Depth=1
	s_add_u32 s8, s36, 0x1000
	s_addc_u32 s9, s37, 0
	s_getpc_b64 s[16:17]
	s_add_u32 s16, s16, _Z50ncclDevFunc_AllReduce_RING_SIMPLE_Sum_f8e4m3_0_0_4v@rel32@lo+4
	s_addc_u32 s17, s17, _Z50ncclDevFunc_AllReduce_RING_SIMPLE_Sum_f8e4m3_0_0_4v@rel32@hi+12
	s_mov_b64 s[4:5], s[48:49]
	s_mov_b64 s[6:7], s[38:39]
	;; [unrolled: 1-line block ×3, first 2 shown]
	s_mov_b32 s12, s55
	s_mov_b32 s13, s54
	;; [unrolled: 1-line block ×3, first 2 shown]
	v_mov_b32_e32 v31, v40
	s_swappc_b64 s[30:31], s[16:17]
.LBB2_222:                              ;   in Loop: Header=BB2_82 Depth=1
	s_mov_b64 s[4:5], 0
.LBB2_223:                              ;   in Loop: Header=BB2_82 Depth=1
	s_andn2_b64 vcc, exec, s[4:5]
	s_cbranch_vccnz .LBB2_232
; %bb.224:                              ;   in Loop: Header=BB2_82 Depth=1
	s_cmpk_gt_u32 s71, 0x65
	s_mov_b64 s[4:5], -1
	s_cbranch_scc0 .LBB2_230
; %bb.225:                              ;   in Loop: Header=BB2_82 Depth=1
	s_cmpk_eq_i32 s71, 0x68
	s_cbranch_scc1 .LBB2_227
; %bb.226:                              ;   in Loop: Header=BB2_82 Depth=1
	s_add_u32 s8, s36, 0x1000
	s_addc_u32 s9, s37, 0
	s_getpc_b64 s[16:17]
	s_add_u32 s16, s16, _Z48ncclDevFunc_AllReduce_RING_SIMPLE_Sum_bf16_0_0_4v@rel32@lo+4
	s_addc_u32 s17, s17, _Z48ncclDevFunc_AllReduce_RING_SIMPLE_Sum_bf16_0_0_4v@rel32@hi+12
	s_mov_b64 s[4:5], s[48:49]
	s_mov_b64 s[6:7], s[38:39]
	;; [unrolled: 1-line block ×3, first 2 shown]
	s_mov_b32 s12, s55
	s_mov_b32 s13, s54
	;; [unrolled: 1-line block ×3, first 2 shown]
	v_mov_b32_e32 v31, v40
	s_swappc_b64 s[30:31], s[16:17]
	s_mov_b64 s[4:5], 0
.LBB2_227:                              ;   in Loop: Header=BB2_82 Depth=1
	s_andn2_b64 vcc, exec, s[4:5]
	s_cbranch_vccnz .LBB2_229
; %bb.228:                              ;   in Loop: Header=BB2_82 Depth=1
	s_add_u32 s8, s36, 0x1000
	s_addc_u32 s9, s37, 0
	s_getpc_b64 s[16:17]
	s_add_u32 s16, s16, _Z48ncclDevFunc_AllReduce_RING_SIMPLE_Sum_bf16_0_1_4v@rel32@lo+4
	s_addc_u32 s17, s17, _Z48ncclDevFunc_AllReduce_RING_SIMPLE_Sum_bf16_0_1_4v@rel32@hi+12
	s_mov_b64 s[4:5], s[48:49]
	s_mov_b64 s[6:7], s[38:39]
	;; [unrolled: 1-line block ×3, first 2 shown]
	s_mov_b32 s12, s55
	s_mov_b32 s13, s54
	;; [unrolled: 1-line block ×3, first 2 shown]
	v_mov_b32_e32 v31, v40
	s_swappc_b64 s[30:31], s[16:17]
.LBB2_229:                              ;   in Loop: Header=BB2_82 Depth=1
	s_mov_b64 s[4:5], 0
.LBB2_230:                              ;   in Loop: Header=BB2_82 Depth=1
	s_andn2_b64 vcc, exec, s[4:5]
	s_cbranch_vccnz .LBB2_232
; %bb.231:                              ;   in Loop: Header=BB2_82 Depth=1
	s_add_u32 s8, s36, 0x1000
	s_addc_u32 s9, s37, 0
	s_getpc_b64 s[16:17]
	s_add_u32 s16, s16, _Z47ncclDevFunc_AllReduce_RING_SIMPLE_Sum_f64_0_0_4v@rel32@lo+4
	s_addc_u32 s17, s17, _Z47ncclDevFunc_AllReduce_RING_SIMPLE_Sum_f64_0_0_4v@rel32@hi+12
	s_mov_b64 s[4:5], s[48:49]
	s_mov_b64 s[6:7], s[38:39]
	;; [unrolled: 1-line block ×3, first 2 shown]
	s_mov_b32 s12, s55
	s_mov_b32 s13, s54
	;; [unrolled: 1-line block ×3, first 2 shown]
	v_mov_b32_e32 v31, v40
	s_swappc_b64 s[30:31], s[16:17]
.LBB2_232:                              ;   in Loop: Header=BB2_82 Depth=1
	s_mov_b64 s[4:5], 0
.LBB2_233:                              ;   in Loop: Header=BB2_82 Depth=1
	s_andn2_b64 vcc, exec, s[4:5]
	s_cbranch_vccnz .LBB2_256
; %bb.234:                              ;   in Loop: Header=BB2_82 Depth=1
	s_cmpk_gt_u32 s71, 0x5d
	s_mov_b64 s[4:5], -1
	s_cbranch_scc0 .LBB2_244
; %bb.235:                              ;   in Loop: Header=BB2_82 Depth=1
	s_cmpk_gt_u32 s71, 0x60
	s_cbranch_scc0 .LBB2_241
; %bb.236:                              ;   in Loop: Header=BB2_82 Depth=1
	s_cmpk_lg_i32 s71, 0x61
	s_cbranch_scc0 .LBB2_238
; %bb.237:                              ;   in Loop: Header=BB2_82 Depth=1
	s_add_u32 s8, s36, 0x1000
	s_addc_u32 s9, s37, 0
	s_getpc_b64 s[16:17]
	s_add_u32 s16, s16, _Z47ncclDevFunc_AllReduce_RING_SIMPLE_Sum_f32_0_0_4v@rel32@lo+4
	s_addc_u32 s17, s17, _Z47ncclDevFunc_AllReduce_RING_SIMPLE_Sum_f32_0_0_4v@rel32@hi+12
	s_mov_b64 s[4:5], s[48:49]
	s_mov_b64 s[6:7], s[38:39]
	s_mov_b64 s[10:11], s[34:35]
	s_mov_b32 s12, s55
	s_mov_b32 s13, s54
	;; [unrolled: 1-line block ×3, first 2 shown]
	v_mov_b32_e32 v31, v40
	s_swappc_b64 s[30:31], s[16:17]
	s_mov_b64 s[4:5], 0
.LBB2_238:                              ;   in Loop: Header=BB2_82 Depth=1
	s_andn2_b64 vcc, exec, s[4:5]
	s_cbranch_vccnz .LBB2_240
; %bb.239:                              ;   in Loop: Header=BB2_82 Depth=1
	s_add_u32 s8, s36, 0x1000
	s_addc_u32 s9, s37, 0
	s_getpc_b64 s[16:17]
	s_add_u32 s16, s16, _Z47ncclDevFunc_AllReduce_RING_SIMPLE_Sum_f16_0_0_4v@rel32@lo+4
	s_addc_u32 s17, s17, _Z47ncclDevFunc_AllReduce_RING_SIMPLE_Sum_f16_0_0_4v@rel32@hi+12
	s_mov_b64 s[4:5], s[48:49]
	s_mov_b64 s[6:7], s[38:39]
	;; [unrolled: 1-line block ×3, first 2 shown]
	s_mov_b32 s12, s55
	s_mov_b32 s13, s54
	;; [unrolled: 1-line block ×3, first 2 shown]
	v_mov_b32_e32 v31, v40
	s_swappc_b64 s[30:31], s[16:17]
.LBB2_240:                              ;   in Loop: Header=BB2_82 Depth=1
	s_mov_b64 s[4:5], 0
.LBB2_241:                              ;   in Loop: Header=BB2_82 Depth=1
	s_andn2_b64 vcc, exec, s[4:5]
	s_cbranch_vccnz .LBB2_243
; %bb.242:                              ;   in Loop: Header=BB2_82 Depth=1
	s_add_u32 s8, s36, 0x1000
	s_addc_u32 s9, s37, 0
	s_getpc_b64 s[16:17]
	s_add_u32 s16, s16, _Z47ncclDevFunc_AllReduce_RING_SIMPLE_Sum_u64_0_0_4v@rel32@lo+4
	s_addc_u32 s17, s17, _Z47ncclDevFunc_AllReduce_RING_SIMPLE_Sum_u64_0_0_4v@rel32@hi+12
	s_mov_b64 s[4:5], s[48:49]
	s_mov_b64 s[6:7], s[38:39]
	;; [unrolled: 1-line block ×3, first 2 shown]
	s_mov_b32 s12, s55
	s_mov_b32 s13, s54
	;; [unrolled: 1-line block ×3, first 2 shown]
	v_mov_b32_e32 v31, v40
	s_swappc_b64 s[30:31], s[16:17]
.LBB2_243:                              ;   in Loop: Header=BB2_82 Depth=1
	s_mov_b64 s[4:5], 0
.LBB2_244:                              ;   in Loop: Header=BB2_82 Depth=1
	s_andn2_b64 vcc, exec, s[4:5]
	s_cbranch_vccnz .LBB2_256
; %bb.245:                              ;   in Loop: Header=BB2_82 Depth=1
	s_cmpk_gt_u32 s71, 0x5a
	s_mov_b64 s[4:5], -1
	s_cbranch_scc0 .LBB2_251
; %bb.246:                              ;   in Loop: Header=BB2_82 Depth=1
	s_cmpk_lg_i32 s71, 0x5b
	s_cbranch_scc0 .LBB2_248
; %bb.247:                              ;   in Loop: Header=BB2_82 Depth=1
	s_add_u32 s8, s36, 0x1000
	s_addc_u32 s9, s37, 0
	s_getpc_b64 s[16:17]
	s_add_u32 s16, s16, _Z47ncclDevFunc_AllReduce_RING_SIMPLE_Sum_u32_0_0_4v@rel32@lo+4
	s_addc_u32 s17, s17, _Z47ncclDevFunc_AllReduce_RING_SIMPLE_Sum_u32_0_0_4v@rel32@hi+12
	s_mov_b64 s[4:5], s[48:49]
	s_mov_b64 s[6:7], s[38:39]
	;; [unrolled: 1-line block ×3, first 2 shown]
	s_mov_b32 s12, s55
	s_mov_b32 s13, s54
	;; [unrolled: 1-line block ×3, first 2 shown]
	v_mov_b32_e32 v31, v40
	s_swappc_b64 s[30:31], s[16:17]
	s_mov_b64 s[4:5], 0
.LBB2_248:                              ;   in Loop: Header=BB2_82 Depth=1
	s_andn2_b64 vcc, exec, s[4:5]
	s_cbranch_vccnz .LBB2_250
; %bb.249:                              ;   in Loop: Header=BB2_82 Depth=1
	s_add_u32 s8, s36, 0x1000
	s_addc_u32 s9, s37, 0
	s_getpc_b64 s[16:17]
	s_add_u32 s16, s16, _Z46ncclDevFunc_AllReduce_RING_SIMPLE_Sum_u8_0_0_4v@rel32@lo+4
	s_addc_u32 s17, s17, _Z46ncclDevFunc_AllReduce_RING_SIMPLE_Sum_u8_0_0_4v@rel32@hi+12
	s_mov_b64 s[4:5], s[48:49]
	s_mov_b64 s[6:7], s[38:39]
	;; [unrolled: 1-line block ×3, first 2 shown]
	s_mov_b32 s12, s55
	s_mov_b32 s13, s54
	;; [unrolled: 1-line block ×3, first 2 shown]
	v_mov_b32_e32 v31, v40
	s_swappc_b64 s[30:31], s[16:17]
.LBB2_250:                              ;   in Loop: Header=BB2_82 Depth=1
	s_mov_b64 s[4:5], 0
.LBB2_251:                              ;   in Loop: Header=BB2_82 Depth=1
	s_andn2_b64 vcc, exec, s[4:5]
	s_cbranch_vccnz .LBB2_256
; %bb.252:                              ;   in Loop: Header=BB2_82 Depth=1
	s_cmpk_eq_i32 s71, 0x5a
	s_mov_b64 s[4:5], -1
	s_cbranch_scc1 .LBB2_254
; %bb.253:                              ;   in Loop: Header=BB2_82 Depth=1
	s_add_u32 s8, s36, 0x1000
	s_addc_u32 s9, s37, 0
	s_getpc_b64 s[16:17]
	s_add_u32 s16, s16, _Z54ncclDevFunc_ReduceScatter_RING_LL_SumPostDiv_u32_0_0_4v@rel32@lo+4
	s_addc_u32 s17, s17, _Z54ncclDevFunc_ReduceScatter_RING_LL_SumPostDiv_u32_0_0_4v@rel32@hi+12
	s_mov_b64 s[4:5], s[48:49]
	s_mov_b64 s[6:7], s[38:39]
	;; [unrolled: 1-line block ×3, first 2 shown]
	s_mov_b32 s12, s55
	s_mov_b32 s13, s54
	;; [unrolled: 1-line block ×3, first 2 shown]
	v_mov_b32_e32 v31, v40
	s_swappc_b64 s[30:31], s[16:17]
	s_mov_b64 s[4:5], 0
.LBB2_254:                              ;   in Loop: Header=BB2_82 Depth=1
	s_andn2_b64 vcc, exec, s[4:5]
	s_cbranch_vccnz .LBB2_256
; %bb.255:                              ;   in Loop: Header=BB2_82 Depth=1
	s_add_u32 s8, s36, 0x1000
	s_addc_u32 s9, s37, 0
	s_getpc_b64 s[16:17]
	s_add_u32 s16, s16, _Z54ncclDevFunc_ReduceScatter_RING_LL_SumPostDiv_u64_0_0_4v@rel32@lo+4
	s_addc_u32 s17, s17, _Z54ncclDevFunc_ReduceScatter_RING_LL_SumPostDiv_u64_0_0_4v@rel32@hi+12
	s_mov_b64 s[4:5], s[48:49]
	s_mov_b64 s[6:7], s[38:39]
	;; [unrolled: 1-line block ×3, first 2 shown]
	s_mov_b32 s12, s55
	s_mov_b32 s13, s54
	;; [unrolled: 1-line block ×3, first 2 shown]
	v_mov_b32_e32 v31, v40
	s_swappc_b64 s[30:31], s[16:17]
.LBB2_256:                              ;   in Loop: Header=BB2_82 Depth=1
	s_mov_b64 s[4:5], 0
.LBB2_257:                              ;   in Loop: Header=BB2_82 Depth=1
	s_andn2_b64 vcc, exec, s[4:5]
	s_cbranch_vccnz .LBB2_568
; %bb.258:                              ;   in Loop: Header=BB2_82 Depth=1
	s_and_b32 s71, 0xffff, s70
	s_cmp_gt_u32 s71, 43
	s_mov_b64 s[4:5], -1
	s_cbranch_scc0 .LBB2_413
; %bb.259:                              ;   in Loop: Header=BB2_82 Depth=1
	s_cmpk_gt_u32 s71, 0x41
	s_cbranch_scc0 .LBB2_342
; %bb.260:                              ;   in Loop: Header=BB2_82 Depth=1
	s_cmpk_gt_u32 s71, 0x4c
	;; [unrolled: 3-line block ×4, first 2 shown]
	s_cbranch_scc0 .LBB2_272
; %bb.263:                              ;   in Loop: Header=BB2_82 Depth=1
	s_sext_i32_i16 s4, s70
	s_cmpk_lt_i32 s4, 0x57
	s_mov_b64 s[4:5], -1
	s_cbranch_scc1 .LBB2_269
; %bb.264:                              ;   in Loop: Header=BB2_82 Depth=1
	s_cmpk_lg_i32 s71, 0x57
	s_cbranch_scc0 .LBB2_266
; %bb.265:                              ;   in Loop: Header=BB2_82 Depth=1
	s_add_u32 s8, s36, 0x1000
	s_addc_u32 s9, s37, 0
	s_getpc_b64 s[16:17]
	s_add_u32 s16, s16, _Z53ncclDevFunc_ReduceScatter_RING_LL_SumPostDiv_u8_0_0_4v@rel32@lo+4
	s_addc_u32 s17, s17, _Z53ncclDevFunc_ReduceScatter_RING_LL_SumPostDiv_u8_0_0_4v@rel32@hi+12
	s_mov_b64 s[4:5], s[48:49]
	s_mov_b64 s[6:7], s[38:39]
	;; [unrolled: 1-line block ×3, first 2 shown]
	s_mov_b32 s12, s55
	s_mov_b32 s13, s54
	;; [unrolled: 1-line block ×3, first 2 shown]
	v_mov_b32_e32 v31, v40
	s_swappc_b64 s[30:31], s[16:17]
	s_mov_b64 s[4:5], 0
.LBB2_266:                              ;   in Loop: Header=BB2_82 Depth=1
	s_andn2_b64 vcc, exec, s[4:5]
	s_cbranch_vccnz .LBB2_268
; %bb.267:                              ;   in Loop: Header=BB2_82 Depth=1
	s_add_u32 s8, s36, 0x1000
	s_addc_u32 s9, s37, 0
	s_getpc_b64 s[16:17]
	s_add_u32 s16, s16, _Z56ncclDevFunc_ReduceScatter_RING_LL_PreMulSum_f8e5m2_0_0_4v@rel32@lo+4
	s_addc_u32 s17, s17, _Z56ncclDevFunc_ReduceScatter_RING_LL_PreMulSum_f8e5m2_0_0_4v@rel32@hi+12
	s_mov_b64 s[4:5], s[48:49]
	s_mov_b64 s[6:7], s[38:39]
	;; [unrolled: 1-line block ×3, first 2 shown]
	s_mov_b32 s12, s55
	s_mov_b32 s13, s54
	;; [unrolled: 1-line block ×3, first 2 shown]
	v_mov_b32_e32 v31, v40
	s_swappc_b64 s[30:31], s[16:17]
.LBB2_268:                              ;   in Loop: Header=BB2_82 Depth=1
	s_mov_b64 s[4:5], 0
.LBB2_269:                              ;   in Loop: Header=BB2_82 Depth=1
	s_andn2_b64 vcc, exec, s[4:5]
	s_cbranch_vccnz .LBB2_271
; %bb.270:                              ;   in Loop: Header=BB2_82 Depth=1
	s_add_u32 s8, s36, 0x1000
	s_addc_u32 s9, s37, 0
	s_getpc_b64 s[16:17]
	s_add_u32 s16, s16, _Z56ncclDevFunc_ReduceScatter_RING_LL_PreMulSum_f8e4m3_0_0_4v@rel32@lo+4
	s_addc_u32 s17, s17, _Z56ncclDevFunc_ReduceScatter_RING_LL_PreMulSum_f8e4m3_0_0_4v@rel32@hi+12
	s_mov_b64 s[4:5], s[48:49]
	s_mov_b64 s[6:7], s[38:39]
	;; [unrolled: 1-line block ×3, first 2 shown]
	s_mov_b32 s12, s55
	s_mov_b32 s13, s54
	;; [unrolled: 1-line block ×3, first 2 shown]
	v_mov_b32_e32 v31, v40
	s_swappc_b64 s[30:31], s[16:17]
.LBB2_271:                              ;   in Loop: Header=BB2_82 Depth=1
	s_mov_b64 s[4:5], 0
.LBB2_272:                              ;   in Loop: Header=BB2_82 Depth=1
	s_and_b64 vcc, exec, s[4:5]
	s_cbranch_vccz .LBB2_281
; %bb.273:                              ;   in Loop: Header=BB2_82 Depth=1
	s_sext_i32_i16 s4, s70
	s_cmpk_lt_i32 s4, 0x54
	s_mov_b64 s[4:5], -1
	s_cbranch_scc1 .LBB2_279
; %bb.274:                              ;   in Loop: Header=BB2_82 Depth=1
	s_cmpk_lg_i32 s71, 0x54
	s_cbranch_scc0 .LBB2_276
; %bb.275:                              ;   in Loop: Header=BB2_82 Depth=1
	s_add_u32 s8, s36, 0x1000
	s_addc_u32 s9, s37, 0
	s_getpc_b64 s[16:17]
	s_add_u32 s16, s16, _Z54ncclDevFunc_ReduceScatter_RING_LL_PreMulSum_bf16_0_0_4v@rel32@lo+4
	s_addc_u32 s17, s17, _Z54ncclDevFunc_ReduceScatter_RING_LL_PreMulSum_bf16_0_0_4v@rel32@hi+12
	s_mov_b64 s[4:5], s[48:49]
	s_mov_b64 s[6:7], s[38:39]
	;; [unrolled: 1-line block ×3, first 2 shown]
	s_mov_b32 s12, s55
	s_mov_b32 s13, s54
	;; [unrolled: 1-line block ×3, first 2 shown]
	v_mov_b32_e32 v31, v40
	s_swappc_b64 s[30:31], s[16:17]
	s_mov_b64 s[4:5], 0
.LBB2_276:                              ;   in Loop: Header=BB2_82 Depth=1
	s_andn2_b64 vcc, exec, s[4:5]
	s_cbranch_vccnz .LBB2_278
; %bb.277:                              ;   in Loop: Header=BB2_82 Depth=1
	s_add_u32 s8, s36, 0x1000
	s_addc_u32 s9, s37, 0
	s_getpc_b64 s[16:17]
	s_add_u32 s16, s16, _Z53ncclDevFunc_ReduceScatter_RING_LL_PreMulSum_f64_0_0_4v@rel32@lo+4
	s_addc_u32 s17, s17, _Z53ncclDevFunc_ReduceScatter_RING_LL_PreMulSum_f64_0_0_4v@rel32@hi+12
	s_mov_b64 s[4:5], s[48:49]
	s_mov_b64 s[6:7], s[38:39]
	;; [unrolled: 1-line block ×3, first 2 shown]
	s_mov_b32 s12, s55
	s_mov_b32 s13, s54
	;; [unrolled: 1-line block ×3, first 2 shown]
	v_mov_b32_e32 v31, v40
	s_swappc_b64 s[30:31], s[16:17]
.LBB2_278:                              ;   in Loop: Header=BB2_82 Depth=1
	s_mov_b64 s[4:5], 0
.LBB2_279:                              ;   in Loop: Header=BB2_82 Depth=1
	s_andn2_b64 vcc, exec, s[4:5]
	s_cbranch_vccnz .LBB2_281
; %bb.280:                              ;   in Loop: Header=BB2_82 Depth=1
	s_add_u32 s8, s36, 0x1000
	s_addc_u32 s9, s37, 0
	s_getpc_b64 s[16:17]
	s_add_u32 s16, s16, _Z53ncclDevFunc_ReduceScatter_RING_LL_PreMulSum_f32_0_0_4v@rel32@lo+4
	s_addc_u32 s17, s17, _Z53ncclDevFunc_ReduceScatter_RING_LL_PreMulSum_f32_0_0_4v@rel32@hi+12
	s_mov_b64 s[4:5], s[48:49]
	s_mov_b64 s[6:7], s[38:39]
	;; [unrolled: 1-line block ×3, first 2 shown]
	s_mov_b32 s12, s55
	s_mov_b32 s13, s54
	;; [unrolled: 1-line block ×3, first 2 shown]
	v_mov_b32_e32 v31, v40
	s_swappc_b64 s[30:31], s[16:17]
.LBB2_281:                              ;   in Loop: Header=BB2_82 Depth=1
	s_mov_b64 s[4:5], 0
.LBB2_282:                              ;   in Loop: Header=BB2_82 Depth=1
	s_andn2_b64 vcc, exec, s[4:5]
	s_cbranch_vccnz .LBB2_302
; %bb.283:                              ;   in Loop: Header=BB2_82 Depth=1
	s_cmpk_gt_u32 s71, 0x4f
	s_mov_b64 s[4:5], -1
	s_cbranch_scc0 .LBB2_293
; %bb.284:                              ;   in Loop: Header=BB2_82 Depth=1
	s_sext_i32_i16 s4, s70
	s_cmpk_lt_i32 s4, 0x51
	s_mov_b64 s[4:5], -1
	s_cbranch_scc1 .LBB2_290
; %bb.285:                              ;   in Loop: Header=BB2_82 Depth=1
	s_cmpk_lg_i32 s71, 0x51
	s_cbranch_scc0 .LBB2_287
; %bb.286:                              ;   in Loop: Header=BB2_82 Depth=1
	s_add_u32 s8, s36, 0x1000
	s_addc_u32 s9, s37, 0
	s_getpc_b64 s[16:17]
	s_add_u32 s16, s16, _Z53ncclDevFunc_ReduceScatter_RING_LL_PreMulSum_f16_0_0_4v@rel32@lo+4
	s_addc_u32 s17, s17, _Z53ncclDevFunc_ReduceScatter_RING_LL_PreMulSum_f16_0_0_4v@rel32@hi+12
	s_mov_b64 s[4:5], s[48:49]
	s_mov_b64 s[6:7], s[38:39]
	;; [unrolled: 1-line block ×3, first 2 shown]
	s_mov_b32 s12, s55
	s_mov_b32 s13, s54
	;; [unrolled: 1-line block ×3, first 2 shown]
	v_mov_b32_e32 v31, v40
	s_swappc_b64 s[30:31], s[16:17]
	s_mov_b64 s[4:5], 0
.LBB2_287:                              ;   in Loop: Header=BB2_82 Depth=1
	s_andn2_b64 vcc, exec, s[4:5]
	s_cbranch_vccnz .LBB2_289
; %bb.288:                              ;   in Loop: Header=BB2_82 Depth=1
	s_add_u32 s8, s36, 0x1000
	s_addc_u32 s9, s37, 0
	s_getpc_b64 s[16:17]
	s_add_u32 s16, s16, _Z53ncclDevFunc_ReduceScatter_RING_LL_PreMulSum_u64_0_0_4v@rel32@lo+4
	s_addc_u32 s17, s17, _Z53ncclDevFunc_ReduceScatter_RING_LL_PreMulSum_u64_0_0_4v@rel32@hi+12
	s_mov_b64 s[4:5], s[48:49]
	s_mov_b64 s[6:7], s[38:39]
	;; [unrolled: 1-line block ×3, first 2 shown]
	s_mov_b32 s12, s55
	s_mov_b32 s13, s54
	;; [unrolled: 1-line block ×3, first 2 shown]
	v_mov_b32_e32 v31, v40
	s_swappc_b64 s[30:31], s[16:17]
.LBB2_289:                              ;   in Loop: Header=BB2_82 Depth=1
	s_mov_b64 s[4:5], 0
.LBB2_290:                              ;   in Loop: Header=BB2_82 Depth=1
	s_andn2_b64 vcc, exec, s[4:5]
	s_cbranch_vccnz .LBB2_292
; %bb.291:                              ;   in Loop: Header=BB2_82 Depth=1
	s_add_u32 s8, s36, 0x1000
	s_addc_u32 s9, s37, 0
	s_getpc_b64 s[16:17]
	s_add_u32 s16, s16, _Z53ncclDevFunc_ReduceScatter_RING_LL_PreMulSum_u32_0_0_4v@rel32@lo+4
	s_addc_u32 s17, s17, _Z53ncclDevFunc_ReduceScatter_RING_LL_PreMulSum_u32_0_0_4v@rel32@hi+12
	s_mov_b64 s[4:5], s[48:49]
	s_mov_b64 s[6:7], s[38:39]
	;; [unrolled: 1-line block ×3, first 2 shown]
	s_mov_b32 s12, s55
	s_mov_b32 s13, s54
	;; [unrolled: 1-line block ×3, first 2 shown]
	v_mov_b32_e32 v31, v40
	s_swappc_b64 s[30:31], s[16:17]
.LBB2_292:                              ;   in Loop: Header=BB2_82 Depth=1
	s_mov_b64 s[4:5], 0
.LBB2_293:                              ;   in Loop: Header=BB2_82 Depth=1
	s_and_b64 vcc, exec, s[4:5]
	s_cbranch_vccz .LBB2_302
; %bb.294:                              ;   in Loop: Header=BB2_82 Depth=1
	s_sext_i32_i16 s4, s70
	s_cmpk_lt_i32 s4, 0x4e
	s_mov_b64 s[4:5], -1
	s_cbranch_scc1 .LBB2_300
; %bb.295:                              ;   in Loop: Header=BB2_82 Depth=1
	s_cmpk_lg_i32 s71, 0x4e
	s_cbranch_scc0 .LBB2_297
; %bb.296:                              ;   in Loop: Header=BB2_82 Depth=1
	s_add_u32 s8, s36, 0x1000
	s_addc_u32 s9, s37, 0
	s_getpc_b64 s[16:17]
	s_add_u32 s16, s16, _Z52ncclDevFunc_ReduceScatter_RING_LL_PreMulSum_u8_0_0_4v@rel32@lo+4
	s_addc_u32 s17, s17, _Z52ncclDevFunc_ReduceScatter_RING_LL_PreMulSum_u8_0_0_4v@rel32@hi+12
	s_mov_b64 s[4:5], s[48:49]
	s_mov_b64 s[6:7], s[38:39]
	;; [unrolled: 1-line block ×3, first 2 shown]
	s_mov_b32 s12, s55
	s_mov_b32 s13, s54
	;; [unrolled: 1-line block ×3, first 2 shown]
	v_mov_b32_e32 v31, v40
	s_swappc_b64 s[30:31], s[16:17]
	s_mov_b64 s[4:5], 0
.LBB2_297:                              ;   in Loop: Header=BB2_82 Depth=1
	s_andn2_b64 vcc, exec, s[4:5]
	s_cbranch_vccnz .LBB2_299
; %bb.298:                              ;   in Loop: Header=BB2_82 Depth=1
	s_add_u32 s8, s36, 0x1000
	s_addc_u32 s9, s37, 0
	s_getpc_b64 s[16:17]
	s_add_u32 s16, s16, _Z53ncclDevFunc_ReduceScatter_RING_LL_MinMax_f8e5m2_0_0_4v@rel32@lo+4
	s_addc_u32 s17, s17, _Z53ncclDevFunc_ReduceScatter_RING_LL_MinMax_f8e5m2_0_0_4v@rel32@hi+12
	s_mov_b64 s[4:5], s[48:49]
	s_mov_b64 s[6:7], s[38:39]
	;; [unrolled: 1-line block ×3, first 2 shown]
	s_mov_b32 s12, s55
	s_mov_b32 s13, s54
	;; [unrolled: 1-line block ×3, first 2 shown]
	v_mov_b32_e32 v31, v40
	s_swappc_b64 s[30:31], s[16:17]
.LBB2_299:                              ;   in Loop: Header=BB2_82 Depth=1
	s_mov_b64 s[4:5], 0
.LBB2_300:                              ;   in Loop: Header=BB2_82 Depth=1
	s_andn2_b64 vcc, exec, s[4:5]
	s_cbranch_vccnz .LBB2_302
; %bb.301:                              ;   in Loop: Header=BB2_82 Depth=1
	s_add_u32 s8, s36, 0x1000
	s_addc_u32 s9, s37, 0
	s_getpc_b64 s[16:17]
	s_add_u32 s16, s16, _Z53ncclDevFunc_ReduceScatter_RING_LL_MinMax_f8e4m3_0_0_4v@rel32@lo+4
	s_addc_u32 s17, s17, _Z53ncclDevFunc_ReduceScatter_RING_LL_MinMax_f8e4m3_0_0_4v@rel32@hi+12
	s_mov_b64 s[4:5], s[48:49]
	s_mov_b64 s[6:7], s[38:39]
	;; [unrolled: 1-line block ×3, first 2 shown]
	s_mov_b32 s12, s55
	s_mov_b32 s13, s54
	;; [unrolled: 1-line block ×3, first 2 shown]
	v_mov_b32_e32 v31, v40
	s_swappc_b64 s[30:31], s[16:17]
.LBB2_302:                              ;   in Loop: Header=BB2_82 Depth=1
	s_mov_b64 s[4:5], 0
.LBB2_303:                              ;   in Loop: Header=BB2_82 Depth=1
	s_andn2_b64 vcc, exec, s[4:5]
	s_cbranch_vccnz .LBB2_341
; %bb.304:                              ;   in Loop: Header=BB2_82 Depth=1
	s_cmpk_gt_u32 s71, 0x46
	s_mov_b64 s[4:5], -1
	s_cbranch_scc0 .LBB2_325
; %bb.305:                              ;   in Loop: Header=BB2_82 Depth=1
	s_cmpk_gt_u32 s71, 0x49
	s_cbranch_scc0 .LBB2_315
; %bb.306:                              ;   in Loop: Header=BB2_82 Depth=1
	s_sext_i32_i16 s4, s70
	s_cmpk_lt_i32 s4, 0x4b
	s_mov_b64 s[4:5], -1
	s_cbranch_scc1 .LBB2_312
; %bb.307:                              ;   in Loop: Header=BB2_82 Depth=1
	s_cmpk_lg_i32 s71, 0x4b
	s_cbranch_scc0 .LBB2_309
; %bb.308:                              ;   in Loop: Header=BB2_82 Depth=1
	s_add_u32 s8, s36, 0x1000
	s_addc_u32 s9, s37, 0
	s_getpc_b64 s[16:17]
	s_add_u32 s16, s16, _Z51ncclDevFunc_ReduceScatter_RING_LL_MinMax_bf16_0_0_4v@rel32@lo+4
	s_addc_u32 s17, s17, _Z51ncclDevFunc_ReduceScatter_RING_LL_MinMax_bf16_0_0_4v@rel32@hi+12
	s_mov_b64 s[4:5], s[48:49]
	s_mov_b64 s[6:7], s[38:39]
	;; [unrolled: 1-line block ×3, first 2 shown]
	s_mov_b32 s12, s55
	s_mov_b32 s13, s54
	;; [unrolled: 1-line block ×3, first 2 shown]
	v_mov_b32_e32 v31, v40
	s_swappc_b64 s[30:31], s[16:17]
	s_mov_b64 s[4:5], 0
.LBB2_309:                              ;   in Loop: Header=BB2_82 Depth=1
	s_andn2_b64 vcc, exec, s[4:5]
	s_cbranch_vccnz .LBB2_311
; %bb.310:                              ;   in Loop: Header=BB2_82 Depth=1
	s_add_u32 s8, s36, 0x1000
	s_addc_u32 s9, s37, 0
	s_getpc_b64 s[16:17]
	s_add_u32 s16, s16, _Z50ncclDevFunc_ReduceScatter_RING_LL_MinMax_f64_0_0_4v@rel32@lo+4
	s_addc_u32 s17, s17, _Z50ncclDevFunc_ReduceScatter_RING_LL_MinMax_f64_0_0_4v@rel32@hi+12
	s_mov_b64 s[4:5], s[48:49]
	s_mov_b64 s[6:7], s[38:39]
	;; [unrolled: 1-line block ×3, first 2 shown]
	s_mov_b32 s12, s55
	s_mov_b32 s13, s54
	;; [unrolled: 1-line block ×3, first 2 shown]
	v_mov_b32_e32 v31, v40
	s_swappc_b64 s[30:31], s[16:17]
.LBB2_311:                              ;   in Loop: Header=BB2_82 Depth=1
	s_mov_b64 s[4:5], 0
.LBB2_312:                              ;   in Loop: Header=BB2_82 Depth=1
	s_andn2_b64 vcc, exec, s[4:5]
	s_cbranch_vccnz .LBB2_314
; %bb.313:                              ;   in Loop: Header=BB2_82 Depth=1
	s_add_u32 s8, s36, 0x1000
	s_addc_u32 s9, s37, 0
	s_getpc_b64 s[16:17]
	s_add_u32 s16, s16, _Z50ncclDevFunc_ReduceScatter_RING_LL_MinMax_f32_0_0_4v@rel32@lo+4
	s_addc_u32 s17, s17, _Z50ncclDevFunc_ReduceScatter_RING_LL_MinMax_f32_0_0_4v@rel32@hi+12
	s_mov_b64 s[4:5], s[48:49]
	s_mov_b64 s[6:7], s[38:39]
	;; [unrolled: 1-line block ×3, first 2 shown]
	s_mov_b32 s12, s55
	s_mov_b32 s13, s54
	;; [unrolled: 1-line block ×3, first 2 shown]
	v_mov_b32_e32 v31, v40
	s_swappc_b64 s[30:31], s[16:17]
.LBB2_314:                              ;   in Loop: Header=BB2_82 Depth=1
	s_mov_b64 s[4:5], 0
.LBB2_315:                              ;   in Loop: Header=BB2_82 Depth=1
	s_and_b64 vcc, exec, s[4:5]
	s_cbranch_vccz .LBB2_324
; %bb.316:                              ;   in Loop: Header=BB2_82 Depth=1
	s_sext_i32_i16 s4, s70
	s_cmpk_lt_i32 s4, 0x48
	s_mov_b64 s[4:5], -1
	s_cbranch_scc1 .LBB2_322
; %bb.317:                              ;   in Loop: Header=BB2_82 Depth=1
	s_cmpk_lg_i32 s71, 0x48
	s_cbranch_scc0 .LBB2_319
; %bb.318:                              ;   in Loop: Header=BB2_82 Depth=1
	s_add_u32 s8, s36, 0x1000
	s_addc_u32 s9, s37, 0
	s_getpc_b64 s[16:17]
	s_add_u32 s16, s16, _Z50ncclDevFunc_ReduceScatter_RING_LL_MinMax_f16_0_0_4v@rel32@lo+4
	s_addc_u32 s17, s17, _Z50ncclDevFunc_ReduceScatter_RING_LL_MinMax_f16_0_0_4v@rel32@hi+12
	s_mov_b64 s[4:5], s[48:49]
	s_mov_b64 s[6:7], s[38:39]
	;; [unrolled: 1-line block ×3, first 2 shown]
	s_mov_b32 s12, s55
	s_mov_b32 s13, s54
	;; [unrolled: 1-line block ×3, first 2 shown]
	v_mov_b32_e32 v31, v40
	s_swappc_b64 s[30:31], s[16:17]
	s_mov_b64 s[4:5], 0
.LBB2_319:                              ;   in Loop: Header=BB2_82 Depth=1
	s_andn2_b64 vcc, exec, s[4:5]
	s_cbranch_vccnz .LBB2_321
; %bb.320:                              ;   in Loop: Header=BB2_82 Depth=1
	s_add_u32 s8, s36, 0x1000
	s_addc_u32 s9, s37, 0
	s_getpc_b64 s[16:17]
	s_add_u32 s16, s16, _Z50ncclDevFunc_ReduceScatter_RING_LL_MinMax_u64_0_0_4v@rel32@lo+4
	s_addc_u32 s17, s17, _Z50ncclDevFunc_ReduceScatter_RING_LL_MinMax_u64_0_0_4v@rel32@hi+12
	s_mov_b64 s[4:5], s[48:49]
	s_mov_b64 s[6:7], s[38:39]
	;; [unrolled: 1-line block ×3, first 2 shown]
	s_mov_b32 s12, s55
	s_mov_b32 s13, s54
	;; [unrolled: 1-line block ×3, first 2 shown]
	v_mov_b32_e32 v31, v40
	s_swappc_b64 s[30:31], s[16:17]
.LBB2_321:                              ;   in Loop: Header=BB2_82 Depth=1
	s_mov_b64 s[4:5], 0
.LBB2_322:                              ;   in Loop: Header=BB2_82 Depth=1
	s_andn2_b64 vcc, exec, s[4:5]
	s_cbranch_vccnz .LBB2_324
; %bb.323:                              ;   in Loop: Header=BB2_82 Depth=1
	s_add_u32 s8, s36, 0x1000
	s_addc_u32 s9, s37, 0
	s_getpc_b64 s[16:17]
	s_add_u32 s16, s16, _Z50ncclDevFunc_ReduceScatter_RING_LL_MinMax_u32_0_0_4v@rel32@lo+4
	s_addc_u32 s17, s17, _Z50ncclDevFunc_ReduceScatter_RING_LL_MinMax_u32_0_0_4v@rel32@hi+12
	s_mov_b64 s[4:5], s[48:49]
	s_mov_b64 s[6:7], s[38:39]
	;; [unrolled: 1-line block ×3, first 2 shown]
	s_mov_b32 s12, s55
	s_mov_b32 s13, s54
	;; [unrolled: 1-line block ×3, first 2 shown]
	v_mov_b32_e32 v31, v40
	s_swappc_b64 s[30:31], s[16:17]
.LBB2_324:                              ;   in Loop: Header=BB2_82 Depth=1
	s_mov_b64 s[4:5], 0
.LBB2_325:                              ;   in Loop: Header=BB2_82 Depth=1
	s_andn2_b64 vcc, exec, s[4:5]
	s_cbranch_vccnz .LBB2_341
; %bb.326:                              ;   in Loop: Header=BB2_82 Depth=1
	s_cmpk_gt_u32 s71, 0x43
	s_mov_b64 s[4:5], -1
	s_cbranch_scc0 .LBB2_336
; %bb.327:                              ;   in Loop: Header=BB2_82 Depth=1
	s_sext_i32_i16 s4, s70
	s_cmpk_lt_i32 s4, 0x45
	s_mov_b64 s[4:5], -1
	s_cbranch_scc1 .LBB2_333
; %bb.328:                              ;   in Loop: Header=BB2_82 Depth=1
	s_cmpk_lg_i32 s71, 0x45
	s_cbranch_scc0 .LBB2_330
; %bb.329:                              ;   in Loop: Header=BB2_82 Depth=1
	s_add_u32 s8, s36, 0x1000
	s_addc_u32 s9, s37, 0
	s_getpc_b64 s[16:17]
	s_add_u32 s16, s16, _Z49ncclDevFunc_ReduceScatter_RING_LL_MinMax_u8_0_0_4v@rel32@lo+4
	s_addc_u32 s17, s17, _Z49ncclDevFunc_ReduceScatter_RING_LL_MinMax_u8_0_0_4v@rel32@hi+12
	s_mov_b64 s[4:5], s[48:49]
	s_mov_b64 s[6:7], s[38:39]
	;; [unrolled: 1-line block ×3, first 2 shown]
	s_mov_b32 s12, s55
	s_mov_b32 s13, s54
	;; [unrolled: 1-line block ×3, first 2 shown]
	v_mov_b32_e32 v31, v40
	s_swappc_b64 s[30:31], s[16:17]
	s_mov_b64 s[4:5], 0
.LBB2_330:                              ;   in Loop: Header=BB2_82 Depth=1
	s_andn2_b64 vcc, exec, s[4:5]
	s_cbranch_vccnz .LBB2_332
; %bb.331:                              ;   in Loop: Header=BB2_82 Depth=1
	s_add_u32 s8, s36, 0x1000
	s_addc_u32 s9, s37, 0
	s_getpc_b64 s[16:17]
	s_add_u32 s16, s16, _Z51ncclDevFunc_ReduceScatter_RING_LL_Prod_f8e5m2_0_0_4v@rel32@lo+4
	s_addc_u32 s17, s17, _Z51ncclDevFunc_ReduceScatter_RING_LL_Prod_f8e5m2_0_0_4v@rel32@hi+12
	s_mov_b64 s[4:5], s[48:49]
	s_mov_b64 s[6:7], s[38:39]
	;; [unrolled: 1-line block ×3, first 2 shown]
	s_mov_b32 s12, s55
	s_mov_b32 s13, s54
	;; [unrolled: 1-line block ×3, first 2 shown]
	v_mov_b32_e32 v31, v40
	s_swappc_b64 s[30:31], s[16:17]
.LBB2_332:                              ;   in Loop: Header=BB2_82 Depth=1
	s_mov_b64 s[4:5], 0
.LBB2_333:                              ;   in Loop: Header=BB2_82 Depth=1
	s_andn2_b64 vcc, exec, s[4:5]
	s_cbranch_vccnz .LBB2_335
; %bb.334:                              ;   in Loop: Header=BB2_82 Depth=1
	s_add_u32 s8, s36, 0x1000
	s_addc_u32 s9, s37, 0
	s_getpc_b64 s[16:17]
	s_add_u32 s16, s16, _Z51ncclDevFunc_ReduceScatter_RING_LL_Prod_f8e4m3_0_0_4v@rel32@lo+4
	s_addc_u32 s17, s17, _Z51ncclDevFunc_ReduceScatter_RING_LL_Prod_f8e4m3_0_0_4v@rel32@hi+12
	s_mov_b64 s[4:5], s[48:49]
	s_mov_b64 s[6:7], s[38:39]
	;; [unrolled: 1-line block ×3, first 2 shown]
	s_mov_b32 s12, s55
	s_mov_b32 s13, s54
	;; [unrolled: 1-line block ×3, first 2 shown]
	v_mov_b32_e32 v31, v40
	s_swappc_b64 s[30:31], s[16:17]
.LBB2_335:                              ;   in Loop: Header=BB2_82 Depth=1
	s_mov_b64 s[4:5], 0
.LBB2_336:                              ;   in Loop: Header=BB2_82 Depth=1
	s_and_b64 vcc, exec, s[4:5]
	s_cbranch_vccz .LBB2_341
; %bb.337:                              ;   in Loop: Header=BB2_82 Depth=1
	s_cmpk_eq_i32 s71, 0x43
	s_mov_b64 s[4:5], -1
	s_cbranch_scc1 .LBB2_339
; %bb.338:                              ;   in Loop: Header=BB2_82 Depth=1
	s_add_u32 s8, s36, 0x1000
	s_addc_u32 s9, s37, 0
	s_getpc_b64 s[16:17]
	s_add_u32 s16, s16, _Z48ncclDevFunc_ReduceScatter_RING_LL_Prod_f64_0_0_4v@rel32@lo+4
	s_addc_u32 s17, s17, _Z48ncclDevFunc_ReduceScatter_RING_LL_Prod_f64_0_0_4v@rel32@hi+12
	s_mov_b64 s[4:5], s[48:49]
	s_mov_b64 s[6:7], s[38:39]
	;; [unrolled: 1-line block ×3, first 2 shown]
	s_mov_b32 s12, s55
	s_mov_b32 s13, s54
	s_mov_b32 s14, s33
	v_mov_b32_e32 v31, v40
	s_swappc_b64 s[30:31], s[16:17]
	s_mov_b64 s[4:5], 0
.LBB2_339:                              ;   in Loop: Header=BB2_82 Depth=1
	s_andn2_b64 vcc, exec, s[4:5]
	s_cbranch_vccnz .LBB2_341
; %bb.340:                              ;   in Loop: Header=BB2_82 Depth=1
	s_add_u32 s8, s36, 0x1000
	s_addc_u32 s9, s37, 0
	s_getpc_b64 s[16:17]
	s_add_u32 s16, s16, _Z49ncclDevFunc_ReduceScatter_RING_LL_Prod_bf16_0_0_4v@rel32@lo+4
	s_addc_u32 s17, s17, _Z49ncclDevFunc_ReduceScatter_RING_LL_Prod_bf16_0_0_4v@rel32@hi+12
	s_mov_b64 s[4:5], s[48:49]
	s_mov_b64 s[6:7], s[38:39]
	;; [unrolled: 1-line block ×3, first 2 shown]
	s_mov_b32 s12, s55
	s_mov_b32 s13, s54
	;; [unrolled: 1-line block ×3, first 2 shown]
	v_mov_b32_e32 v31, v40
	s_swappc_b64 s[30:31], s[16:17]
.LBB2_341:                              ;   in Loop: Header=BB2_82 Depth=1
	s_mov_b64 s[4:5], 0
.LBB2_342:                              ;   in Loop: Header=BB2_82 Depth=1
	s_andn2_b64 vcc, exec, s[4:5]
	s_cbranch_vccnz .LBB2_412
; %bb.343:                              ;   in Loop: Header=BB2_82 Depth=1
	s_cmp_gt_u32 s71, 54
	s_mov_b64 s[4:5], -1
	s_cbranch_scc0 .LBB2_382
; %bb.344:                              ;   in Loop: Header=BB2_82 Depth=1
	s_cmp_gt_u32 s71, 59
	s_cbranch_scc0 .LBB2_365
; %bb.345:                              ;   in Loop: Header=BB2_82 Depth=1
	s_cmp_gt_u32 s71, 62
	s_cbranch_scc0 .LBB2_355
; %bb.346:                              ;   in Loop: Header=BB2_82 Depth=1
	s_sext_i32_i16 s4, s70
	s_cmp_lt_i32 s4, 64
	s_mov_b64 s[4:5], -1
	s_cbranch_scc1 .LBB2_352
; %bb.347:                              ;   in Loop: Header=BB2_82 Depth=1
	s_cmp_lg_u32 s71, 64
	s_cbranch_scc0 .LBB2_349
; %bb.348:                              ;   in Loop: Header=BB2_82 Depth=1
	s_add_u32 s8, s36, 0x1000
	s_addc_u32 s9, s37, 0
	s_getpc_b64 s[16:17]
	s_add_u32 s16, s16, _Z48ncclDevFunc_ReduceScatter_RING_LL_Prod_f32_0_0_4v@rel32@lo+4
	s_addc_u32 s17, s17, _Z48ncclDevFunc_ReduceScatter_RING_LL_Prod_f32_0_0_4v@rel32@hi+12
	s_mov_b64 s[4:5], s[48:49]
	s_mov_b64 s[6:7], s[38:39]
	;; [unrolled: 1-line block ×3, first 2 shown]
	s_mov_b32 s12, s55
	s_mov_b32 s13, s54
	;; [unrolled: 1-line block ×3, first 2 shown]
	v_mov_b32_e32 v31, v40
	s_swappc_b64 s[30:31], s[16:17]
	s_mov_b64 s[4:5], 0
.LBB2_349:                              ;   in Loop: Header=BB2_82 Depth=1
	s_andn2_b64 vcc, exec, s[4:5]
	s_cbranch_vccnz .LBB2_351
; %bb.350:                              ;   in Loop: Header=BB2_82 Depth=1
	s_add_u32 s8, s36, 0x1000
	s_addc_u32 s9, s37, 0
	s_getpc_b64 s[16:17]
	s_add_u32 s16, s16, _Z48ncclDevFunc_ReduceScatter_RING_LL_Prod_f16_0_0_4v@rel32@lo+4
	s_addc_u32 s17, s17, _Z48ncclDevFunc_ReduceScatter_RING_LL_Prod_f16_0_0_4v@rel32@hi+12
	s_mov_b64 s[4:5], s[48:49]
	s_mov_b64 s[6:7], s[38:39]
	;; [unrolled: 1-line block ×3, first 2 shown]
	s_mov_b32 s12, s55
	s_mov_b32 s13, s54
	s_mov_b32 s14, s33
	v_mov_b32_e32 v31, v40
	s_swappc_b64 s[30:31], s[16:17]
.LBB2_351:                              ;   in Loop: Header=BB2_82 Depth=1
	s_mov_b64 s[4:5], 0
.LBB2_352:                              ;   in Loop: Header=BB2_82 Depth=1
	s_andn2_b64 vcc, exec, s[4:5]
	s_cbranch_vccnz .LBB2_354
; %bb.353:                              ;   in Loop: Header=BB2_82 Depth=1
	s_add_u32 s8, s36, 0x1000
	s_addc_u32 s9, s37, 0
	s_getpc_b64 s[16:17]
	s_add_u32 s16, s16, _Z48ncclDevFunc_ReduceScatter_RING_LL_Prod_u64_0_0_4v@rel32@lo+4
	s_addc_u32 s17, s17, _Z48ncclDevFunc_ReduceScatter_RING_LL_Prod_u64_0_0_4v@rel32@hi+12
	s_mov_b64 s[4:5], s[48:49]
	s_mov_b64 s[6:7], s[38:39]
	;; [unrolled: 1-line block ×3, first 2 shown]
	s_mov_b32 s12, s55
	s_mov_b32 s13, s54
	;; [unrolled: 1-line block ×3, first 2 shown]
	v_mov_b32_e32 v31, v40
	s_swappc_b64 s[30:31], s[16:17]
.LBB2_354:                              ;   in Loop: Header=BB2_82 Depth=1
	s_mov_b64 s[4:5], 0
.LBB2_355:                              ;   in Loop: Header=BB2_82 Depth=1
	s_and_b64 vcc, exec, s[4:5]
	s_cbranch_vccz .LBB2_364
; %bb.356:                              ;   in Loop: Header=BB2_82 Depth=1
	s_sext_i32_i16 s4, s70
	s_cmp_lt_i32 s4, 61
	s_mov_b64 s[4:5], -1
	s_cbranch_scc1 .LBB2_362
; %bb.357:                              ;   in Loop: Header=BB2_82 Depth=1
	s_cmp_lg_u32 s71, 61
	s_cbranch_scc0 .LBB2_359
; %bb.358:                              ;   in Loop: Header=BB2_82 Depth=1
	s_add_u32 s8, s36, 0x1000
	s_addc_u32 s9, s37, 0
	s_getpc_b64 s[16:17]
	s_add_u32 s16, s16, _Z48ncclDevFunc_ReduceScatter_RING_LL_Prod_u32_0_0_4v@rel32@lo+4
	s_addc_u32 s17, s17, _Z48ncclDevFunc_ReduceScatter_RING_LL_Prod_u32_0_0_4v@rel32@hi+12
	s_mov_b64 s[4:5], s[48:49]
	s_mov_b64 s[6:7], s[38:39]
	;; [unrolled: 1-line block ×3, first 2 shown]
	s_mov_b32 s12, s55
	s_mov_b32 s13, s54
	;; [unrolled: 1-line block ×3, first 2 shown]
	v_mov_b32_e32 v31, v40
	s_swappc_b64 s[30:31], s[16:17]
	s_mov_b64 s[4:5], 0
.LBB2_359:                              ;   in Loop: Header=BB2_82 Depth=1
	s_andn2_b64 vcc, exec, s[4:5]
	s_cbranch_vccnz .LBB2_361
; %bb.360:                              ;   in Loop: Header=BB2_82 Depth=1
	s_add_u32 s8, s36, 0x1000
	s_addc_u32 s9, s37, 0
	s_getpc_b64 s[16:17]
	s_add_u32 s16, s16, _Z47ncclDevFunc_ReduceScatter_RING_LL_Prod_u8_0_0_4v@rel32@lo+4
	s_addc_u32 s17, s17, _Z47ncclDevFunc_ReduceScatter_RING_LL_Prod_u8_0_0_4v@rel32@hi+12
	s_mov_b64 s[4:5], s[48:49]
	s_mov_b64 s[6:7], s[38:39]
	;; [unrolled: 1-line block ×3, first 2 shown]
	s_mov_b32 s12, s55
	s_mov_b32 s13, s54
	;; [unrolled: 1-line block ×3, first 2 shown]
	v_mov_b32_e32 v31, v40
	s_swappc_b64 s[30:31], s[16:17]
.LBB2_361:                              ;   in Loop: Header=BB2_82 Depth=1
	s_mov_b64 s[4:5], 0
.LBB2_362:                              ;   in Loop: Header=BB2_82 Depth=1
	s_andn2_b64 vcc, exec, s[4:5]
	s_cbranch_vccnz .LBB2_364
; %bb.363:                              ;   in Loop: Header=BB2_82 Depth=1
	s_add_u32 s8, s36, 0x1000
	s_addc_u32 s9, s37, 0
	s_getpc_b64 s[16:17]
	s_add_u32 s16, s16, _Z50ncclDevFunc_ReduceScatter_RING_LL_Sum_f8e5m2_0_0_4v@rel32@lo+4
	s_addc_u32 s17, s17, _Z50ncclDevFunc_ReduceScatter_RING_LL_Sum_f8e5m2_0_0_4v@rel32@hi+12
	s_mov_b64 s[4:5], s[48:49]
	s_mov_b64 s[6:7], s[38:39]
	;; [unrolled: 1-line block ×3, first 2 shown]
	s_mov_b32 s12, s55
	s_mov_b32 s13, s54
	s_mov_b32 s14, s33
	v_mov_b32_e32 v31, v40
	s_swappc_b64 s[30:31], s[16:17]
.LBB2_364:                              ;   in Loop: Header=BB2_82 Depth=1
	s_mov_b64 s[4:5], 0
.LBB2_365:                              ;   in Loop: Header=BB2_82 Depth=1
	s_andn2_b64 vcc, exec, s[4:5]
	s_cbranch_vccnz .LBB2_381
; %bb.366:                              ;   in Loop: Header=BB2_82 Depth=1
	s_cmp_gt_u32 s71, 56
	s_mov_b64 s[4:5], -1
	s_cbranch_scc0 .LBB2_376
; %bb.367:                              ;   in Loop: Header=BB2_82 Depth=1
	s_sext_i32_i16 s4, s70
	s_cmp_lt_i32 s4, 58
	s_mov_b64 s[4:5], -1
	s_cbranch_scc1 .LBB2_373
; %bb.368:                              ;   in Loop: Header=BB2_82 Depth=1
	s_cmp_lg_u32 s71, 58
	s_cbranch_scc0 .LBB2_370
; %bb.369:                              ;   in Loop: Header=BB2_82 Depth=1
	s_add_u32 s8, s36, 0x1000
	s_addc_u32 s9, s37, 0
	s_getpc_b64 s[16:17]
	s_add_u32 s16, s16, _Z50ncclDevFunc_ReduceScatter_RING_LL_Sum_f8e4m3_0_0_4v@rel32@lo+4
	s_addc_u32 s17, s17, _Z50ncclDevFunc_ReduceScatter_RING_LL_Sum_f8e4m3_0_0_4v@rel32@hi+12
	s_mov_b64 s[4:5], s[48:49]
	s_mov_b64 s[6:7], s[38:39]
	;; [unrolled: 1-line block ×3, first 2 shown]
	s_mov_b32 s12, s55
	s_mov_b32 s13, s54
	;; [unrolled: 1-line block ×3, first 2 shown]
	v_mov_b32_e32 v31, v40
	s_swappc_b64 s[30:31], s[16:17]
	s_mov_b64 s[4:5], 0
.LBB2_370:                              ;   in Loop: Header=BB2_82 Depth=1
	s_andn2_b64 vcc, exec, s[4:5]
	s_cbranch_vccnz .LBB2_372
; %bb.371:                              ;   in Loop: Header=BB2_82 Depth=1
	s_add_u32 s8, s36, 0x1000
	s_addc_u32 s9, s37, 0
	s_getpc_b64 s[16:17]
	s_add_u32 s16, s16, _Z48ncclDevFunc_ReduceScatter_RING_LL_Sum_bf16_0_0_4v@rel32@lo+4
	s_addc_u32 s17, s17, _Z48ncclDevFunc_ReduceScatter_RING_LL_Sum_bf16_0_0_4v@rel32@hi+12
	s_mov_b64 s[4:5], s[48:49]
	s_mov_b64 s[6:7], s[38:39]
	;; [unrolled: 1-line block ×3, first 2 shown]
	s_mov_b32 s12, s55
	s_mov_b32 s13, s54
	s_mov_b32 s14, s33
	v_mov_b32_e32 v31, v40
	s_swappc_b64 s[30:31], s[16:17]
.LBB2_372:                              ;   in Loop: Header=BB2_82 Depth=1
	s_mov_b64 s[4:5], 0
.LBB2_373:                              ;   in Loop: Header=BB2_82 Depth=1
	s_andn2_b64 vcc, exec, s[4:5]
	s_cbranch_vccnz .LBB2_375
; %bb.374:                              ;   in Loop: Header=BB2_82 Depth=1
	s_add_u32 s8, s36, 0x1000
	s_addc_u32 s9, s37, 0
	s_getpc_b64 s[16:17]
	s_add_u32 s16, s16, _Z47ncclDevFunc_ReduceScatter_RING_LL_Sum_f64_0_0_4v@rel32@lo+4
	s_addc_u32 s17, s17, _Z47ncclDevFunc_ReduceScatter_RING_LL_Sum_f64_0_0_4v@rel32@hi+12
	s_mov_b64 s[4:5], s[48:49]
	s_mov_b64 s[6:7], s[38:39]
	;; [unrolled: 1-line block ×3, first 2 shown]
	s_mov_b32 s12, s55
	s_mov_b32 s13, s54
	;; [unrolled: 1-line block ×3, first 2 shown]
	v_mov_b32_e32 v31, v40
	s_swappc_b64 s[30:31], s[16:17]
.LBB2_375:                              ;   in Loop: Header=BB2_82 Depth=1
	s_mov_b64 s[4:5], 0
.LBB2_376:                              ;   in Loop: Header=BB2_82 Depth=1
	s_and_b64 vcc, exec, s[4:5]
	s_cbranch_vccz .LBB2_381
; %bb.377:                              ;   in Loop: Header=BB2_82 Depth=1
	s_cmp_eq_u32 s71, 56
	s_mov_b64 s[4:5], -1
	s_cbranch_scc1 .LBB2_379
; %bb.378:                              ;   in Loop: Header=BB2_82 Depth=1
	s_add_u32 s8, s36, 0x1000
	s_addc_u32 s9, s37, 0
	s_getpc_b64 s[16:17]
	s_add_u32 s16, s16, _Z47ncclDevFunc_ReduceScatter_RING_LL_Sum_f16_0_0_4v@rel32@lo+4
	s_addc_u32 s17, s17, _Z47ncclDevFunc_ReduceScatter_RING_LL_Sum_f16_0_0_4v@rel32@hi+12
	s_mov_b64 s[4:5], s[48:49]
	s_mov_b64 s[6:7], s[38:39]
	;; [unrolled: 1-line block ×3, first 2 shown]
	s_mov_b32 s12, s55
	s_mov_b32 s13, s54
	;; [unrolled: 1-line block ×3, first 2 shown]
	v_mov_b32_e32 v31, v40
	s_swappc_b64 s[30:31], s[16:17]
	s_mov_b64 s[4:5], 0
.LBB2_379:                              ;   in Loop: Header=BB2_82 Depth=1
	s_andn2_b64 vcc, exec, s[4:5]
	s_cbranch_vccnz .LBB2_381
; %bb.380:                              ;   in Loop: Header=BB2_82 Depth=1
	s_add_u32 s8, s36, 0x1000
	s_addc_u32 s9, s37, 0
	s_getpc_b64 s[16:17]
	s_add_u32 s16, s16, _Z47ncclDevFunc_ReduceScatter_RING_LL_Sum_f32_0_0_4v@rel32@lo+4
	s_addc_u32 s17, s17, _Z47ncclDevFunc_ReduceScatter_RING_LL_Sum_f32_0_0_4v@rel32@hi+12
	s_mov_b64 s[4:5], s[48:49]
	s_mov_b64 s[6:7], s[38:39]
	;; [unrolled: 1-line block ×3, first 2 shown]
	s_mov_b32 s12, s55
	s_mov_b32 s13, s54
	;; [unrolled: 1-line block ×3, first 2 shown]
	v_mov_b32_e32 v31, v40
	s_swappc_b64 s[30:31], s[16:17]
.LBB2_381:                              ;   in Loop: Header=BB2_82 Depth=1
	s_mov_b64 s[4:5], 0
.LBB2_382:                              ;   in Loop: Header=BB2_82 Depth=1
	s_andn2_b64 vcc, exec, s[4:5]
	s_cbranch_vccnz .LBB2_412
; %bb.383:                              ;   in Loop: Header=BB2_82 Depth=1
	s_cmp_gt_u32 s71, 48
	s_mov_b64 s[4:5], -1
	s_cbranch_scc0 .LBB2_400
; %bb.384:                              ;   in Loop: Header=BB2_82 Depth=1
	s_cmp_gt_u32 s71, 51
	s_cbranch_scc0 .LBB2_394
; %bb.385:                              ;   in Loop: Header=BB2_82 Depth=1
	s_sext_i32_i16 s4, s70
	s_cmp_lt_i32 s4, 53
	s_mov_b64 s[4:5], -1
	s_cbranch_scc1 .LBB2_391
; %bb.386:                              ;   in Loop: Header=BB2_82 Depth=1
	s_cmp_lg_u32 s71, 53
	s_cbranch_scc0 .LBB2_388
; %bb.387:                              ;   in Loop: Header=BB2_82 Depth=1
	s_add_u32 s8, s36, 0x1000
	s_addc_u32 s9, s37, 0
	s_getpc_b64 s[16:17]
	s_add_u32 s16, s16, _Z47ncclDevFunc_ReduceScatter_RING_LL_Sum_u64_0_0_4v@rel32@lo+4
	s_addc_u32 s17, s17, _Z47ncclDevFunc_ReduceScatter_RING_LL_Sum_u64_0_0_4v@rel32@hi+12
	s_mov_b64 s[4:5], s[48:49]
	s_mov_b64 s[6:7], s[38:39]
	;; [unrolled: 1-line block ×3, first 2 shown]
	s_mov_b32 s12, s55
	s_mov_b32 s13, s54
	;; [unrolled: 1-line block ×3, first 2 shown]
	v_mov_b32_e32 v31, v40
	s_swappc_b64 s[30:31], s[16:17]
	s_mov_b64 s[4:5], 0
.LBB2_388:                              ;   in Loop: Header=BB2_82 Depth=1
	s_andn2_b64 vcc, exec, s[4:5]
	s_cbranch_vccnz .LBB2_390
; %bb.389:                              ;   in Loop: Header=BB2_82 Depth=1
	s_add_u32 s8, s36, 0x1000
	s_addc_u32 s9, s37, 0
	s_getpc_b64 s[16:17]
	s_add_u32 s16, s16, _Z47ncclDevFunc_ReduceScatter_RING_LL_Sum_u32_0_0_4v@rel32@lo+4
	s_addc_u32 s17, s17, _Z47ncclDevFunc_ReduceScatter_RING_LL_Sum_u32_0_0_4v@rel32@hi+12
	s_mov_b64 s[4:5], s[48:49]
	s_mov_b64 s[6:7], s[38:39]
	;; [unrolled: 1-line block ×3, first 2 shown]
	s_mov_b32 s12, s55
	s_mov_b32 s13, s54
	;; [unrolled: 1-line block ×3, first 2 shown]
	v_mov_b32_e32 v31, v40
	s_swappc_b64 s[30:31], s[16:17]
.LBB2_390:                              ;   in Loop: Header=BB2_82 Depth=1
	s_mov_b64 s[4:5], 0
.LBB2_391:                              ;   in Loop: Header=BB2_82 Depth=1
	s_andn2_b64 vcc, exec, s[4:5]
	s_cbranch_vccnz .LBB2_393
; %bb.392:                              ;   in Loop: Header=BB2_82 Depth=1
	s_add_u32 s8, s36, 0x1000
	s_addc_u32 s9, s37, 0
	s_getpc_b64 s[16:17]
	s_add_u32 s16, s16, _Z46ncclDevFunc_ReduceScatter_RING_LL_Sum_u8_0_0_4v@rel32@lo+4
	s_addc_u32 s17, s17, _Z46ncclDevFunc_ReduceScatter_RING_LL_Sum_u8_0_0_4v@rel32@hi+12
	s_mov_b64 s[4:5], s[48:49]
	s_mov_b64 s[6:7], s[38:39]
	s_mov_b64 s[10:11], s[34:35]
	s_mov_b32 s12, s55
	s_mov_b32 s13, s54
	s_mov_b32 s14, s33
	v_mov_b32_e32 v31, v40
	s_swappc_b64 s[30:31], s[16:17]
.LBB2_393:                              ;   in Loop: Header=BB2_82 Depth=1
	s_mov_b64 s[4:5], 0
.LBB2_394:                              ;   in Loop: Header=BB2_82 Depth=1
	s_and_b64 vcc, exec, s[4:5]
	s_cbranch_vccz .LBB2_399
; %bb.395:                              ;   in Loop: Header=BB2_82 Depth=1
	s_cmp_lg_u32 s71, 49
	s_mov_b64 s[4:5], -1
	s_cbranch_scc0 .LBB2_397
; %bb.396:                              ;   in Loop: Header=BB2_82 Depth=1
	s_add_u32 s8, s36, 0x1000
	s_addc_u32 s9, s37, 0
	s_getpc_b64 s[16:17]
	s_add_u32 s16, s16, _Z45ncclDevFunc_AllGather_PAT_SIMPLE_Sum_i8_0_0_4v@rel32@lo+4
	s_addc_u32 s17, s17, _Z45ncclDevFunc_AllGather_PAT_SIMPLE_Sum_i8_0_0_4v@rel32@hi+12
	s_mov_b64 s[4:5], s[48:49]
	s_mov_b64 s[6:7], s[38:39]
	;; [unrolled: 1-line block ×3, first 2 shown]
	s_mov_b32 s12, s55
	s_mov_b32 s13, s54
	;; [unrolled: 1-line block ×3, first 2 shown]
	v_mov_b32_e32 v31, v40
	s_swappc_b64 s[30:31], s[16:17]
	s_mov_b64 s[4:5], 0
.LBB2_397:                              ;   in Loop: Header=BB2_82 Depth=1
	s_andn2_b64 vcc, exec, s[4:5]
	s_cbranch_vccnz .LBB2_399
; %bb.398:                              ;   in Loop: Header=BB2_82 Depth=1
	s_add_u32 s8, s36, 0x1000
	s_addc_u32 s9, s37, 0
	s_getpc_b64 s[16:17]
	s_add_u32 s16, s16, _Z41ncclDevFunc_AllGather_PAT_LL_Sum_i8_0_0_4v@rel32@lo+4
	s_addc_u32 s17, s17, _Z41ncclDevFunc_AllGather_PAT_LL_Sum_i8_0_0_4v@rel32@hi+12
	s_mov_b64 s[4:5], s[48:49]
	s_mov_b64 s[6:7], s[38:39]
	;; [unrolled: 1-line block ×3, first 2 shown]
	s_mov_b32 s12, s55
	s_mov_b32 s13, s54
	;; [unrolled: 1-line block ×3, first 2 shown]
	v_mov_b32_e32 v31, v40
	s_swappc_b64 s[30:31], s[16:17]
.LBB2_399:                              ;   in Loop: Header=BB2_82 Depth=1
	s_mov_b64 s[4:5], 0
.LBB2_400:                              ;   in Loop: Header=BB2_82 Depth=1
	s_andn2_b64 vcc, exec, s[4:5]
	s_cbranch_vccnz .LBB2_412
; %bb.401:                              ;   in Loop: Header=BB2_82 Depth=1
	s_cmp_gt_u32 s71, 45
	s_mov_b64 s[4:5], -1
	s_cbranch_scc0 .LBB2_407
; %bb.402:                              ;   in Loop: Header=BB2_82 Depth=1
	s_cmp_lg_u32 s71, 46
	s_cbranch_scc0 .LBB2_404
; %bb.403:                              ;   in Loop: Header=BB2_82 Depth=1
	s_add_u32 s8, s36, 0x1000
	s_addc_u32 s9, s37, 0
	s_getpc_b64 s[16:17]
	s_add_u32 s16, s16, _Z46ncclDevFunc_AllGather_RING_SIMPLE_Sum_i8_0_0_4v@rel32@lo+4
	s_addc_u32 s17, s17, _Z46ncclDevFunc_AllGather_RING_SIMPLE_Sum_i8_0_0_4v@rel32@hi+12
	s_mov_b64 s[4:5], s[48:49]
	s_mov_b64 s[6:7], s[38:39]
	;; [unrolled: 1-line block ×3, first 2 shown]
	s_mov_b32 s12, s55
	s_mov_b32 s13, s54
	;; [unrolled: 1-line block ×3, first 2 shown]
	v_mov_b32_e32 v31, v40
	s_swappc_b64 s[30:31], s[16:17]
	s_mov_b64 s[4:5], 0
.LBB2_404:                              ;   in Loop: Header=BB2_82 Depth=1
	s_andn2_b64 vcc, exec, s[4:5]
	s_cbranch_vccnz .LBB2_406
; %bb.405:                              ;   in Loop: Header=BB2_82 Depth=1
	s_add_u32 s8, s36, 0x1000
	s_addc_u32 s9, s37, 0
	s_getpc_b64 s[16:17]
	s_add_u32 s16, s16, _Z42ncclDevFunc_AllGather_RING_LL_Sum_i8_0_0_4v@rel32@lo+4
	s_addc_u32 s17, s17, _Z42ncclDevFunc_AllGather_RING_LL_Sum_i8_0_0_4v@rel32@hi+12
	s_mov_b64 s[4:5], s[48:49]
	s_mov_b64 s[6:7], s[38:39]
	;; [unrolled: 1-line block ×3, first 2 shown]
	s_mov_b32 s12, s55
	s_mov_b32 s13, s54
	;; [unrolled: 1-line block ×3, first 2 shown]
	v_mov_b32_e32 v31, v40
	s_swappc_b64 s[30:31], s[16:17]
.LBB2_406:                              ;   in Loop: Header=BB2_82 Depth=1
	s_mov_b64 s[4:5], 0
.LBB2_407:                              ;   in Loop: Header=BB2_82 Depth=1
	s_andn2_b64 vcc, exec, s[4:5]
	s_cbranch_vccnz .LBB2_412
; %bb.408:                              ;   in Loop: Header=BB2_82 Depth=1
	s_cmp_eq_u32 s71, 45
	s_mov_b64 s[4:5], -1
	s_cbranch_scc1 .LBB2_410
; %bb.409:                              ;   in Loop: Header=BB2_82 Depth=1
	s_add_u32 s8, s36, 0x1000
	s_addc_u32 s9, s37, 0
	s_getpc_b64 s[16:17]
	s_add_u32 s16, s16, _Z51ncclDevFunc_Reduce_RING_SIMPLE_SumPostDiv_u32_0_0_4v@rel32@lo+4
	s_addc_u32 s17, s17, _Z51ncclDevFunc_Reduce_RING_SIMPLE_SumPostDiv_u32_0_0_4v@rel32@hi+12
	s_mov_b64 s[4:5], s[48:49]
	s_mov_b64 s[6:7], s[38:39]
	;; [unrolled: 1-line block ×3, first 2 shown]
	s_mov_b32 s12, s55
	s_mov_b32 s13, s54
	;; [unrolled: 1-line block ×3, first 2 shown]
	v_mov_b32_e32 v31, v40
	s_swappc_b64 s[30:31], s[16:17]
	s_mov_b64 s[4:5], 0
.LBB2_410:                              ;   in Loop: Header=BB2_82 Depth=1
	s_andn2_b64 vcc, exec, s[4:5]
	s_cbranch_vccnz .LBB2_412
; %bb.411:                              ;   in Loop: Header=BB2_82 Depth=1
	s_add_u32 s8, s36, 0x1000
	s_addc_u32 s9, s37, 0
	s_getpc_b64 s[16:17]
	s_add_u32 s16, s16, _Z51ncclDevFunc_Reduce_RING_SIMPLE_SumPostDiv_u64_0_0_4v@rel32@lo+4
	s_addc_u32 s17, s17, _Z51ncclDevFunc_Reduce_RING_SIMPLE_SumPostDiv_u64_0_0_4v@rel32@hi+12
	s_mov_b64 s[4:5], s[48:49]
	s_mov_b64 s[6:7], s[38:39]
	;; [unrolled: 1-line block ×3, first 2 shown]
	s_mov_b32 s12, s55
	s_mov_b32 s13, s54
	;; [unrolled: 1-line block ×3, first 2 shown]
	v_mov_b32_e32 v31, v40
	s_swappc_b64 s[30:31], s[16:17]
.LBB2_412:                              ;   in Loop: Header=BB2_82 Depth=1
	s_mov_b64 s[4:5], 0
.LBB2_413:                              ;   in Loop: Header=BB2_82 Depth=1
	s_andn2_b64 vcc, exec, s[4:5]
	s_cbranch_vccnz .LBB2_568
; %bb.414:                              ;   in Loop: Header=BB2_82 Depth=1
	s_cmp_gt_u32 s71, 21
	s_mov_b64 s[4:5], -1
	s_cbranch_scc0 .LBB2_493
; %bb.415:                              ;   in Loop: Header=BB2_82 Depth=1
	s_cmp_gt_u32 s71, 32
	s_cbranch_scc0 .LBB2_454
; %bb.416:                              ;   in Loop: Header=BB2_82 Depth=1
	s_cmp_gt_u32 s71, 37
	;; [unrolled: 3-line block ×3, first 2 shown]
	s_cbranch_scc0 .LBB2_427
; %bb.418:                              ;   in Loop: Header=BB2_82 Depth=1
	s_sext_i32_i16 s4, s70
	s_cmp_lt_i32 s4, 42
	s_mov_b64 s[4:5], -1
	s_cbranch_scc1 .LBB2_424
; %bb.419:                              ;   in Loop: Header=BB2_82 Depth=1
	s_cmp_lg_u32 s71, 42
	s_cbranch_scc0 .LBB2_421
; %bb.420:                              ;   in Loop: Header=BB2_82 Depth=1
	s_add_u32 s8, s36, 0x1000
	s_addc_u32 s9, s37, 0
	s_getpc_b64 s[16:17]
	s_add_u32 s16, s16, _Z50ncclDevFunc_Reduce_RING_SIMPLE_SumPostDiv_u8_0_0_4v@rel32@lo+4
	s_addc_u32 s17, s17, _Z50ncclDevFunc_Reduce_RING_SIMPLE_SumPostDiv_u8_0_0_4v@rel32@hi+12
	s_mov_b64 s[4:5], s[48:49]
	s_mov_b64 s[6:7], s[38:39]
	;; [unrolled: 1-line block ×3, first 2 shown]
	s_mov_b32 s12, s55
	s_mov_b32 s13, s54
	;; [unrolled: 1-line block ×3, first 2 shown]
	v_mov_b32_e32 v31, v40
	s_swappc_b64 s[30:31], s[16:17]
	s_mov_b64 s[4:5], 0
.LBB2_421:                              ;   in Loop: Header=BB2_82 Depth=1
	s_andn2_b64 vcc, exec, s[4:5]
	s_cbranch_vccnz .LBB2_423
; %bb.422:                              ;   in Loop: Header=BB2_82 Depth=1
	s_add_u32 s8, s36, 0x1000
	s_addc_u32 s9, s37, 0
	s_getpc_b64 s[16:17]
	s_add_u32 s16, s16, _Z53ncclDevFunc_Reduce_RING_SIMPLE_PreMulSum_f8e5m2_0_0_4v@rel32@lo+4
	s_addc_u32 s17, s17, _Z53ncclDevFunc_Reduce_RING_SIMPLE_PreMulSum_f8e5m2_0_0_4v@rel32@hi+12
	s_mov_b64 s[4:5], s[48:49]
	s_mov_b64 s[6:7], s[38:39]
	;; [unrolled: 1-line block ×3, first 2 shown]
	s_mov_b32 s12, s55
	s_mov_b32 s13, s54
	;; [unrolled: 1-line block ×3, first 2 shown]
	v_mov_b32_e32 v31, v40
	s_swappc_b64 s[30:31], s[16:17]
.LBB2_423:                              ;   in Loop: Header=BB2_82 Depth=1
	s_mov_b64 s[4:5], 0
.LBB2_424:                              ;   in Loop: Header=BB2_82 Depth=1
	s_andn2_b64 vcc, exec, s[4:5]
	s_cbranch_vccnz .LBB2_426
; %bb.425:                              ;   in Loop: Header=BB2_82 Depth=1
	s_add_u32 s8, s36, 0x1000
	s_addc_u32 s9, s37, 0
	s_getpc_b64 s[16:17]
	s_add_u32 s16, s16, _Z53ncclDevFunc_Reduce_RING_SIMPLE_PreMulSum_f8e4m3_0_0_4v@rel32@lo+4
	s_addc_u32 s17, s17, _Z53ncclDevFunc_Reduce_RING_SIMPLE_PreMulSum_f8e4m3_0_0_4v@rel32@hi+12
	s_mov_b64 s[4:5], s[48:49]
	s_mov_b64 s[6:7], s[38:39]
	;; [unrolled: 1-line block ×3, first 2 shown]
	s_mov_b32 s12, s55
	s_mov_b32 s13, s54
	;; [unrolled: 1-line block ×3, first 2 shown]
	v_mov_b32_e32 v31, v40
	s_swappc_b64 s[30:31], s[16:17]
.LBB2_426:                              ;   in Loop: Header=BB2_82 Depth=1
	s_mov_b64 s[4:5], 0
.LBB2_427:                              ;   in Loop: Header=BB2_82 Depth=1
	s_and_b64 vcc, exec, s[4:5]
	s_cbranch_vccz .LBB2_436
; %bb.428:                              ;   in Loop: Header=BB2_82 Depth=1
	s_sext_i32_i16 s4, s70
	s_cmp_lt_i32 s4, 39
	s_mov_b64 s[4:5], -1
	s_cbranch_scc1 .LBB2_434
; %bb.429:                              ;   in Loop: Header=BB2_82 Depth=1
	s_cmp_lg_u32 s71, 39
	s_cbranch_scc0 .LBB2_431
; %bb.430:                              ;   in Loop: Header=BB2_82 Depth=1
	s_add_u32 s8, s36, 0x1000
	s_addc_u32 s9, s37, 0
	s_getpc_b64 s[16:17]
	s_add_u32 s16, s16, _Z51ncclDevFunc_Reduce_RING_SIMPLE_PreMulSum_bf16_0_1_4v@rel32@lo+4
	s_addc_u32 s17, s17, _Z51ncclDevFunc_Reduce_RING_SIMPLE_PreMulSum_bf16_0_1_4v@rel32@hi+12
	s_mov_b64 s[4:5], s[48:49]
	s_mov_b64 s[6:7], s[38:39]
	;; [unrolled: 1-line block ×3, first 2 shown]
	s_mov_b32 s12, s55
	s_mov_b32 s13, s54
	;; [unrolled: 1-line block ×3, first 2 shown]
	v_mov_b32_e32 v31, v40
	s_swappc_b64 s[30:31], s[16:17]
	s_mov_b64 s[4:5], 0
.LBB2_431:                              ;   in Loop: Header=BB2_82 Depth=1
	s_andn2_b64 vcc, exec, s[4:5]
	s_cbranch_vccnz .LBB2_433
; %bb.432:                              ;   in Loop: Header=BB2_82 Depth=1
	s_add_u32 s8, s36, 0x1000
	s_addc_u32 s9, s37, 0
	s_getpc_b64 s[16:17]
	s_add_u32 s16, s16, _Z51ncclDevFunc_Reduce_RING_SIMPLE_PreMulSum_bf16_0_0_4v@rel32@lo+4
	s_addc_u32 s17, s17, _Z51ncclDevFunc_Reduce_RING_SIMPLE_PreMulSum_bf16_0_0_4v@rel32@hi+12
	s_mov_b64 s[4:5], s[48:49]
	s_mov_b64 s[6:7], s[38:39]
	;; [unrolled: 1-line block ×3, first 2 shown]
	s_mov_b32 s12, s55
	s_mov_b32 s13, s54
	;; [unrolled: 1-line block ×3, first 2 shown]
	v_mov_b32_e32 v31, v40
	s_swappc_b64 s[30:31], s[16:17]
.LBB2_433:                              ;   in Loop: Header=BB2_82 Depth=1
	s_mov_b64 s[4:5], 0
.LBB2_434:                              ;   in Loop: Header=BB2_82 Depth=1
	s_andn2_b64 vcc, exec, s[4:5]
	s_cbranch_vccnz .LBB2_436
; %bb.435:                              ;   in Loop: Header=BB2_82 Depth=1
	s_add_u32 s8, s36, 0x1000
	s_addc_u32 s9, s37, 0
	s_getpc_b64 s[16:17]
	s_add_u32 s16, s16, _Z50ncclDevFunc_Reduce_RING_SIMPLE_PreMulSum_f64_0_0_4v@rel32@lo+4
	s_addc_u32 s17, s17, _Z50ncclDevFunc_Reduce_RING_SIMPLE_PreMulSum_f64_0_0_4v@rel32@hi+12
	s_mov_b64 s[4:5], s[48:49]
	s_mov_b64 s[6:7], s[38:39]
	;; [unrolled: 1-line block ×3, first 2 shown]
	s_mov_b32 s12, s55
	s_mov_b32 s13, s54
	;; [unrolled: 1-line block ×3, first 2 shown]
	v_mov_b32_e32 v31, v40
	s_swappc_b64 s[30:31], s[16:17]
.LBB2_436:                              ;   in Loop: Header=BB2_82 Depth=1
	s_mov_b64 s[4:5], 0
.LBB2_437:                              ;   in Loop: Header=BB2_82 Depth=1
	s_andn2_b64 vcc, exec, s[4:5]
	s_cbranch_vccnz .LBB2_453
; %bb.438:                              ;   in Loop: Header=BB2_82 Depth=1
	s_cmp_gt_u32 s71, 34
	s_mov_b64 s[4:5], -1
	s_cbranch_scc0 .LBB2_448
; %bb.439:                              ;   in Loop: Header=BB2_82 Depth=1
	s_sext_i32_i16 s4, s70
	s_cmp_lt_i32 s4, 36
	s_mov_b64 s[4:5], -1
	s_cbranch_scc1 .LBB2_445
; %bb.440:                              ;   in Loop: Header=BB2_82 Depth=1
	s_cmp_lg_u32 s71, 36
	s_cbranch_scc0 .LBB2_442
; %bb.441:                              ;   in Loop: Header=BB2_82 Depth=1
	s_add_u32 s8, s36, 0x1000
	s_addc_u32 s9, s37, 0
	s_getpc_b64 s[16:17]
	s_add_u32 s16, s16, _Z50ncclDevFunc_Reduce_RING_SIMPLE_PreMulSum_f32_0_0_4v@rel32@lo+4
	s_addc_u32 s17, s17, _Z50ncclDevFunc_Reduce_RING_SIMPLE_PreMulSum_f32_0_0_4v@rel32@hi+12
	s_mov_b64 s[4:5], s[48:49]
	s_mov_b64 s[6:7], s[38:39]
	;; [unrolled: 1-line block ×3, first 2 shown]
	s_mov_b32 s12, s55
	s_mov_b32 s13, s54
	;; [unrolled: 1-line block ×3, first 2 shown]
	v_mov_b32_e32 v31, v40
	s_swappc_b64 s[30:31], s[16:17]
	s_mov_b64 s[4:5], 0
.LBB2_442:                              ;   in Loop: Header=BB2_82 Depth=1
	s_andn2_b64 vcc, exec, s[4:5]
	s_cbranch_vccnz .LBB2_444
; %bb.443:                              ;   in Loop: Header=BB2_82 Depth=1
	s_add_u32 s8, s36, 0x1000
	s_addc_u32 s9, s37, 0
	s_getpc_b64 s[16:17]
	s_add_u32 s16, s16, _Z50ncclDevFunc_Reduce_RING_SIMPLE_PreMulSum_f16_0_0_4v@rel32@lo+4
	s_addc_u32 s17, s17, _Z50ncclDevFunc_Reduce_RING_SIMPLE_PreMulSum_f16_0_0_4v@rel32@hi+12
	s_mov_b64 s[4:5], s[48:49]
	s_mov_b64 s[6:7], s[38:39]
	;; [unrolled: 1-line block ×3, first 2 shown]
	s_mov_b32 s12, s55
	s_mov_b32 s13, s54
	;; [unrolled: 1-line block ×3, first 2 shown]
	v_mov_b32_e32 v31, v40
	s_swappc_b64 s[30:31], s[16:17]
.LBB2_444:                              ;   in Loop: Header=BB2_82 Depth=1
	s_mov_b64 s[4:5], 0
.LBB2_445:                              ;   in Loop: Header=BB2_82 Depth=1
	s_andn2_b64 vcc, exec, s[4:5]
	s_cbranch_vccnz .LBB2_447
; %bb.446:                              ;   in Loop: Header=BB2_82 Depth=1
	s_add_u32 s8, s36, 0x1000
	s_addc_u32 s9, s37, 0
	s_getpc_b64 s[16:17]
	s_add_u32 s16, s16, _Z50ncclDevFunc_Reduce_RING_SIMPLE_PreMulSum_u64_0_0_4v@rel32@lo+4
	s_addc_u32 s17, s17, _Z50ncclDevFunc_Reduce_RING_SIMPLE_PreMulSum_u64_0_0_4v@rel32@hi+12
	s_mov_b64 s[4:5], s[48:49]
	s_mov_b64 s[6:7], s[38:39]
	;; [unrolled: 1-line block ×3, first 2 shown]
	s_mov_b32 s12, s55
	s_mov_b32 s13, s54
	;; [unrolled: 1-line block ×3, first 2 shown]
	v_mov_b32_e32 v31, v40
	s_swappc_b64 s[30:31], s[16:17]
.LBB2_447:                              ;   in Loop: Header=BB2_82 Depth=1
	s_mov_b64 s[4:5], 0
.LBB2_448:                              ;   in Loop: Header=BB2_82 Depth=1
	s_and_b64 vcc, exec, s[4:5]
	s_cbranch_vccz .LBB2_453
; %bb.449:                              ;   in Loop: Header=BB2_82 Depth=1
	s_cmp_eq_u32 s71, 34
	s_mov_b64 s[4:5], -1
	s_cbranch_scc1 .LBB2_451
; %bb.450:                              ;   in Loop: Header=BB2_82 Depth=1
	s_add_u32 s8, s36, 0x1000
	s_addc_u32 s9, s37, 0
	s_getpc_b64 s[16:17]
	s_add_u32 s16, s16, _Z49ncclDevFunc_Reduce_RING_SIMPLE_PreMulSum_u8_0_0_4v@rel32@lo+4
	s_addc_u32 s17, s17, _Z49ncclDevFunc_Reduce_RING_SIMPLE_PreMulSum_u8_0_0_4v@rel32@hi+12
	s_mov_b64 s[4:5], s[48:49]
	s_mov_b64 s[6:7], s[38:39]
	;; [unrolled: 1-line block ×3, first 2 shown]
	s_mov_b32 s12, s55
	s_mov_b32 s13, s54
	;; [unrolled: 1-line block ×3, first 2 shown]
	v_mov_b32_e32 v31, v40
	s_swappc_b64 s[30:31], s[16:17]
	s_mov_b64 s[4:5], 0
.LBB2_451:                              ;   in Loop: Header=BB2_82 Depth=1
	s_andn2_b64 vcc, exec, s[4:5]
	s_cbranch_vccnz .LBB2_453
; %bb.452:                              ;   in Loop: Header=BB2_82 Depth=1
	s_add_u32 s8, s36, 0x1000
	s_addc_u32 s9, s37, 0
	s_getpc_b64 s[16:17]
	s_add_u32 s16, s16, _Z50ncclDevFunc_Reduce_RING_SIMPLE_PreMulSum_u32_0_0_4v@rel32@lo+4
	s_addc_u32 s17, s17, _Z50ncclDevFunc_Reduce_RING_SIMPLE_PreMulSum_u32_0_0_4v@rel32@hi+12
	s_mov_b64 s[4:5], s[48:49]
	s_mov_b64 s[6:7], s[38:39]
	;; [unrolled: 1-line block ×3, first 2 shown]
	s_mov_b32 s12, s55
	s_mov_b32 s13, s54
	;; [unrolled: 1-line block ×3, first 2 shown]
	v_mov_b32_e32 v31, v40
	s_swappc_b64 s[30:31], s[16:17]
.LBB2_453:                              ;   in Loop: Header=BB2_82 Depth=1
	s_mov_b64 s[4:5], 0
.LBB2_454:                              ;   in Loop: Header=BB2_82 Depth=1
	s_andn2_b64 vcc, exec, s[4:5]
	s_cbranch_vccnz .LBB2_492
; %bb.455:                              ;   in Loop: Header=BB2_82 Depth=1
	s_cmp_gt_u32 s71, 26
	s_mov_b64 s[4:5], -1
	s_cbranch_scc0 .LBB2_476
; %bb.456:                              ;   in Loop: Header=BB2_82 Depth=1
	s_cmp_gt_u32 s71, 29
	s_cbranch_scc0 .LBB2_466
; %bb.457:                              ;   in Loop: Header=BB2_82 Depth=1
	s_sext_i32_i16 s4, s70
	s_cmp_lt_i32 s4, 31
	s_mov_b64 s[4:5], -1
	s_cbranch_scc1 .LBB2_463
; %bb.458:                              ;   in Loop: Header=BB2_82 Depth=1
	s_cmp_lg_u32 s71, 31
	s_cbranch_scc0 .LBB2_460
; %bb.459:                              ;   in Loop: Header=BB2_82 Depth=1
	s_add_u32 s8, s36, 0x1000
	s_addc_u32 s9, s37, 0
	s_getpc_b64 s[16:17]
	s_add_u32 s16, s16, _Z50ncclDevFunc_Reduce_RING_SIMPLE_MinMax_f8e5m2_0_0_4v@rel32@lo+4
	s_addc_u32 s17, s17, _Z50ncclDevFunc_Reduce_RING_SIMPLE_MinMax_f8e5m2_0_0_4v@rel32@hi+12
	s_mov_b64 s[4:5], s[48:49]
	s_mov_b64 s[6:7], s[38:39]
	;; [unrolled: 1-line block ×3, first 2 shown]
	s_mov_b32 s12, s55
	s_mov_b32 s13, s54
	;; [unrolled: 1-line block ×3, first 2 shown]
	v_mov_b32_e32 v31, v40
	s_swappc_b64 s[30:31], s[16:17]
	s_mov_b64 s[4:5], 0
.LBB2_460:                              ;   in Loop: Header=BB2_82 Depth=1
	s_andn2_b64 vcc, exec, s[4:5]
	s_cbranch_vccnz .LBB2_462
; %bb.461:                              ;   in Loop: Header=BB2_82 Depth=1
	s_add_u32 s8, s36, 0x1000
	s_addc_u32 s9, s37, 0
	s_getpc_b64 s[16:17]
	s_add_u32 s16, s16, _Z50ncclDevFunc_Reduce_RING_SIMPLE_MinMax_f8e4m3_0_0_4v@rel32@lo+4
	s_addc_u32 s17, s17, _Z50ncclDevFunc_Reduce_RING_SIMPLE_MinMax_f8e4m3_0_0_4v@rel32@hi+12
	s_mov_b64 s[4:5], s[48:49]
	s_mov_b64 s[6:7], s[38:39]
	;; [unrolled: 1-line block ×3, first 2 shown]
	s_mov_b32 s12, s55
	s_mov_b32 s13, s54
	;; [unrolled: 1-line block ×3, first 2 shown]
	v_mov_b32_e32 v31, v40
	s_swappc_b64 s[30:31], s[16:17]
.LBB2_462:                              ;   in Loop: Header=BB2_82 Depth=1
	s_mov_b64 s[4:5], 0
.LBB2_463:                              ;   in Loop: Header=BB2_82 Depth=1
	s_andn2_b64 vcc, exec, s[4:5]
	s_cbranch_vccnz .LBB2_465
; %bb.464:                              ;   in Loop: Header=BB2_82 Depth=1
	s_add_u32 s8, s36, 0x1000
	s_addc_u32 s9, s37, 0
	s_getpc_b64 s[16:17]
	s_add_u32 s16, s16, _Z48ncclDevFunc_Reduce_RING_SIMPLE_MinMax_bf16_0_1_4v@rel32@lo+4
	s_addc_u32 s17, s17, _Z48ncclDevFunc_Reduce_RING_SIMPLE_MinMax_bf16_0_1_4v@rel32@hi+12
	s_mov_b64 s[4:5], s[48:49]
	s_mov_b64 s[6:7], s[38:39]
	;; [unrolled: 1-line block ×3, first 2 shown]
	s_mov_b32 s12, s55
	s_mov_b32 s13, s54
	;; [unrolled: 1-line block ×3, first 2 shown]
	v_mov_b32_e32 v31, v40
	s_swappc_b64 s[30:31], s[16:17]
.LBB2_465:                              ;   in Loop: Header=BB2_82 Depth=1
	s_mov_b64 s[4:5], 0
.LBB2_466:                              ;   in Loop: Header=BB2_82 Depth=1
	s_and_b64 vcc, exec, s[4:5]
	s_cbranch_vccz .LBB2_475
; %bb.467:                              ;   in Loop: Header=BB2_82 Depth=1
	s_sext_i32_i16 s4, s70
	s_cmp_lt_i32 s4, 28
	s_mov_b64 s[4:5], -1
	s_cbranch_scc1 .LBB2_473
; %bb.468:                              ;   in Loop: Header=BB2_82 Depth=1
	s_cmp_lg_u32 s71, 28
	s_cbranch_scc0 .LBB2_470
; %bb.469:                              ;   in Loop: Header=BB2_82 Depth=1
	s_add_u32 s8, s36, 0x1000
	s_addc_u32 s9, s37, 0
	s_getpc_b64 s[16:17]
	s_add_u32 s16, s16, _Z48ncclDevFunc_Reduce_RING_SIMPLE_MinMax_bf16_0_0_4v@rel32@lo+4
	s_addc_u32 s17, s17, _Z48ncclDevFunc_Reduce_RING_SIMPLE_MinMax_bf16_0_0_4v@rel32@hi+12
	s_mov_b64 s[4:5], s[48:49]
	s_mov_b64 s[6:7], s[38:39]
	;; [unrolled: 1-line block ×3, first 2 shown]
	s_mov_b32 s12, s55
	s_mov_b32 s13, s54
	;; [unrolled: 1-line block ×3, first 2 shown]
	v_mov_b32_e32 v31, v40
	s_swappc_b64 s[30:31], s[16:17]
	s_mov_b64 s[4:5], 0
.LBB2_470:                              ;   in Loop: Header=BB2_82 Depth=1
	s_andn2_b64 vcc, exec, s[4:5]
	s_cbranch_vccnz .LBB2_472
; %bb.471:                              ;   in Loop: Header=BB2_82 Depth=1
	s_add_u32 s8, s36, 0x1000
	s_addc_u32 s9, s37, 0
	s_getpc_b64 s[16:17]
	s_add_u32 s16, s16, _Z47ncclDevFunc_Reduce_RING_SIMPLE_MinMax_f64_0_0_4v@rel32@lo+4
	s_addc_u32 s17, s17, _Z47ncclDevFunc_Reduce_RING_SIMPLE_MinMax_f64_0_0_4v@rel32@hi+12
	s_mov_b64 s[4:5], s[48:49]
	s_mov_b64 s[6:7], s[38:39]
	;; [unrolled: 1-line block ×3, first 2 shown]
	s_mov_b32 s12, s55
	s_mov_b32 s13, s54
	s_mov_b32 s14, s33
	v_mov_b32_e32 v31, v40
	s_swappc_b64 s[30:31], s[16:17]
.LBB2_472:                              ;   in Loop: Header=BB2_82 Depth=1
	s_mov_b64 s[4:5], 0
.LBB2_473:                              ;   in Loop: Header=BB2_82 Depth=1
	s_andn2_b64 vcc, exec, s[4:5]
	s_cbranch_vccnz .LBB2_475
; %bb.474:                              ;   in Loop: Header=BB2_82 Depth=1
	s_add_u32 s8, s36, 0x1000
	s_addc_u32 s9, s37, 0
	s_getpc_b64 s[16:17]
	s_add_u32 s16, s16, _Z47ncclDevFunc_Reduce_RING_SIMPLE_MinMax_f32_0_0_4v@rel32@lo+4
	s_addc_u32 s17, s17, _Z47ncclDevFunc_Reduce_RING_SIMPLE_MinMax_f32_0_0_4v@rel32@hi+12
	s_mov_b64 s[4:5], s[48:49]
	s_mov_b64 s[6:7], s[38:39]
	;; [unrolled: 1-line block ×3, first 2 shown]
	s_mov_b32 s12, s55
	s_mov_b32 s13, s54
	;; [unrolled: 1-line block ×3, first 2 shown]
	v_mov_b32_e32 v31, v40
	s_swappc_b64 s[30:31], s[16:17]
.LBB2_475:                              ;   in Loop: Header=BB2_82 Depth=1
	s_mov_b64 s[4:5], 0
.LBB2_476:                              ;   in Loop: Header=BB2_82 Depth=1
	s_andn2_b64 vcc, exec, s[4:5]
	s_cbranch_vccnz .LBB2_492
; %bb.477:                              ;   in Loop: Header=BB2_82 Depth=1
	s_cmp_gt_u32 s71, 23
	s_mov_b64 s[4:5], -1
	s_cbranch_scc0 .LBB2_487
; %bb.478:                              ;   in Loop: Header=BB2_82 Depth=1
	s_sext_i32_i16 s4, s70
	s_cmp_lt_i32 s4, 25
	s_mov_b64 s[4:5], -1
	s_cbranch_scc1 .LBB2_484
; %bb.479:                              ;   in Loop: Header=BB2_82 Depth=1
	s_cmp_lg_u32 s71, 25
	s_cbranch_scc0 .LBB2_481
; %bb.480:                              ;   in Loop: Header=BB2_82 Depth=1
	s_add_u32 s8, s36, 0x1000
	s_addc_u32 s9, s37, 0
	s_getpc_b64 s[16:17]
	s_add_u32 s16, s16, _Z47ncclDevFunc_Reduce_RING_SIMPLE_MinMax_f16_0_0_4v@rel32@lo+4
	s_addc_u32 s17, s17, _Z47ncclDevFunc_Reduce_RING_SIMPLE_MinMax_f16_0_0_4v@rel32@hi+12
	s_mov_b64 s[4:5], s[48:49]
	s_mov_b64 s[6:7], s[38:39]
	;; [unrolled: 1-line block ×3, first 2 shown]
	s_mov_b32 s12, s55
	s_mov_b32 s13, s54
	s_mov_b32 s14, s33
	v_mov_b32_e32 v31, v40
	s_swappc_b64 s[30:31], s[16:17]
	s_mov_b64 s[4:5], 0
.LBB2_481:                              ;   in Loop: Header=BB2_82 Depth=1
	s_andn2_b64 vcc, exec, s[4:5]
	s_cbranch_vccnz .LBB2_483
; %bb.482:                              ;   in Loop: Header=BB2_82 Depth=1
	s_add_u32 s8, s36, 0x1000
	s_addc_u32 s9, s37, 0
	s_getpc_b64 s[16:17]
	s_add_u32 s16, s16, _Z47ncclDevFunc_Reduce_RING_SIMPLE_MinMax_u64_0_0_4v@rel32@lo+4
	s_addc_u32 s17, s17, _Z47ncclDevFunc_Reduce_RING_SIMPLE_MinMax_u64_0_0_4v@rel32@hi+12
	s_mov_b64 s[4:5], s[48:49]
	s_mov_b64 s[6:7], s[38:39]
	;; [unrolled: 1-line block ×3, first 2 shown]
	s_mov_b32 s12, s55
	s_mov_b32 s13, s54
	;; [unrolled: 1-line block ×3, first 2 shown]
	v_mov_b32_e32 v31, v40
	s_swappc_b64 s[30:31], s[16:17]
.LBB2_483:                              ;   in Loop: Header=BB2_82 Depth=1
	s_mov_b64 s[4:5], 0
.LBB2_484:                              ;   in Loop: Header=BB2_82 Depth=1
	s_andn2_b64 vcc, exec, s[4:5]
	s_cbranch_vccnz .LBB2_486
; %bb.485:                              ;   in Loop: Header=BB2_82 Depth=1
	s_add_u32 s8, s36, 0x1000
	s_addc_u32 s9, s37, 0
	s_getpc_b64 s[16:17]
	s_add_u32 s16, s16, _Z47ncclDevFunc_Reduce_RING_SIMPLE_MinMax_u32_0_0_4v@rel32@lo+4
	s_addc_u32 s17, s17, _Z47ncclDevFunc_Reduce_RING_SIMPLE_MinMax_u32_0_0_4v@rel32@hi+12
	s_mov_b64 s[4:5], s[48:49]
	s_mov_b64 s[6:7], s[38:39]
	;; [unrolled: 1-line block ×3, first 2 shown]
	s_mov_b32 s12, s55
	s_mov_b32 s13, s54
	;; [unrolled: 1-line block ×3, first 2 shown]
	v_mov_b32_e32 v31, v40
	s_swappc_b64 s[30:31], s[16:17]
.LBB2_486:                              ;   in Loop: Header=BB2_82 Depth=1
	s_mov_b64 s[4:5], 0
.LBB2_487:                              ;   in Loop: Header=BB2_82 Depth=1
	s_and_b64 vcc, exec, s[4:5]
	s_cbranch_vccz .LBB2_492
; %bb.488:                              ;   in Loop: Header=BB2_82 Depth=1
	s_cmp_eq_u32 s71, 23
	s_mov_b64 s[4:5], -1
	s_cbranch_scc1 .LBB2_490
; %bb.489:                              ;   in Loop: Header=BB2_82 Depth=1
	s_add_u32 s8, s36, 0x1000
	s_addc_u32 s9, s37, 0
	s_getpc_b64 s[16:17]
	s_add_u32 s16, s16, _Z48ncclDevFunc_Reduce_RING_SIMPLE_Prod_f8e5m2_0_0_4v@rel32@lo+4
	s_addc_u32 s17, s17, _Z48ncclDevFunc_Reduce_RING_SIMPLE_Prod_f8e5m2_0_0_4v@rel32@hi+12
	s_mov_b64 s[4:5], s[48:49]
	s_mov_b64 s[6:7], s[38:39]
	;; [unrolled: 1-line block ×3, first 2 shown]
	s_mov_b32 s12, s55
	s_mov_b32 s13, s54
	;; [unrolled: 1-line block ×3, first 2 shown]
	v_mov_b32_e32 v31, v40
	s_swappc_b64 s[30:31], s[16:17]
	s_mov_b64 s[4:5], 0
.LBB2_490:                              ;   in Loop: Header=BB2_82 Depth=1
	s_andn2_b64 vcc, exec, s[4:5]
	s_cbranch_vccnz .LBB2_492
; %bb.491:                              ;   in Loop: Header=BB2_82 Depth=1
	s_add_u32 s8, s36, 0x1000
	s_addc_u32 s9, s37, 0
	s_getpc_b64 s[16:17]
	s_add_u32 s16, s16, _Z46ncclDevFunc_Reduce_RING_SIMPLE_MinMax_u8_0_0_4v@rel32@lo+4
	s_addc_u32 s17, s17, _Z46ncclDevFunc_Reduce_RING_SIMPLE_MinMax_u8_0_0_4v@rel32@hi+12
	s_mov_b64 s[4:5], s[48:49]
	s_mov_b64 s[6:7], s[38:39]
	;; [unrolled: 1-line block ×3, first 2 shown]
	s_mov_b32 s12, s55
	s_mov_b32 s13, s54
	;; [unrolled: 1-line block ×3, first 2 shown]
	v_mov_b32_e32 v31, v40
	s_swappc_b64 s[30:31], s[16:17]
.LBB2_492:                              ;   in Loop: Header=BB2_82 Depth=1
	s_mov_b64 s[4:5], 0
.LBB2_493:                              ;   in Loop: Header=BB2_82 Depth=1
	s_andn2_b64 vcc, exec, s[4:5]
	s_cbranch_vccnz .LBB2_568
; %bb.494:                              ;   in Loop: Header=BB2_82 Depth=1
	s_cmp_gt_u32 s71, 10
	s_mov_b64 s[4:5], -1
	s_cbranch_scc0 .LBB2_533
; %bb.495:                              ;   in Loop: Header=BB2_82 Depth=1
	s_cmp_gt_u32 s71, 15
	s_cbranch_scc0 .LBB2_516
; %bb.496:                              ;   in Loop: Header=BB2_82 Depth=1
	s_cmp_gt_u32 s71, 18
	s_cbranch_scc0 .LBB2_506
; %bb.497:                              ;   in Loop: Header=BB2_82 Depth=1
	s_sext_i32_i16 s4, s70
	s_cmp_lt_i32 s4, 20
	s_mov_b64 s[4:5], -1
	s_cbranch_scc1 .LBB2_503
; %bb.498:                              ;   in Loop: Header=BB2_82 Depth=1
	s_cmp_lg_u32 s71, 20
	s_cbranch_scc0 .LBB2_500
; %bb.499:                              ;   in Loop: Header=BB2_82 Depth=1
	s_add_u32 s8, s36, 0x1000
	s_addc_u32 s9, s37, 0
	s_getpc_b64 s[16:17]
	s_add_u32 s16, s16, _Z48ncclDevFunc_Reduce_RING_SIMPLE_Prod_f8e4m3_0_0_4v@rel32@lo+4
	s_addc_u32 s17, s17, _Z48ncclDevFunc_Reduce_RING_SIMPLE_Prod_f8e4m3_0_0_4v@rel32@hi+12
	s_mov_b64 s[4:5], s[48:49]
	s_mov_b64 s[6:7], s[38:39]
	;; [unrolled: 1-line block ×3, first 2 shown]
	s_mov_b32 s12, s55
	s_mov_b32 s13, s54
	;; [unrolled: 1-line block ×3, first 2 shown]
	v_mov_b32_e32 v31, v40
	s_swappc_b64 s[30:31], s[16:17]
	s_mov_b64 s[4:5], 0
.LBB2_500:                              ;   in Loop: Header=BB2_82 Depth=1
	s_andn2_b64 vcc, exec, s[4:5]
	s_cbranch_vccnz .LBB2_502
; %bb.501:                              ;   in Loop: Header=BB2_82 Depth=1
	s_add_u32 s8, s36, 0x1000
	s_addc_u32 s9, s37, 0
	s_getpc_b64 s[16:17]
	s_add_u32 s16, s16, _Z46ncclDevFunc_Reduce_RING_SIMPLE_Prod_bf16_0_1_4v@rel32@lo+4
	s_addc_u32 s17, s17, _Z46ncclDevFunc_Reduce_RING_SIMPLE_Prod_bf16_0_1_4v@rel32@hi+12
	s_mov_b64 s[4:5], s[48:49]
	s_mov_b64 s[6:7], s[38:39]
	;; [unrolled: 1-line block ×3, first 2 shown]
	s_mov_b32 s12, s55
	s_mov_b32 s13, s54
	;; [unrolled: 1-line block ×3, first 2 shown]
	v_mov_b32_e32 v31, v40
	s_swappc_b64 s[30:31], s[16:17]
.LBB2_502:                              ;   in Loop: Header=BB2_82 Depth=1
	s_mov_b64 s[4:5], 0
.LBB2_503:                              ;   in Loop: Header=BB2_82 Depth=1
	s_andn2_b64 vcc, exec, s[4:5]
	s_cbranch_vccnz .LBB2_505
; %bb.504:                              ;   in Loop: Header=BB2_82 Depth=1
	s_add_u32 s8, s36, 0x1000
	s_addc_u32 s9, s37, 0
	s_getpc_b64 s[16:17]
	s_add_u32 s16, s16, _Z46ncclDevFunc_Reduce_RING_SIMPLE_Prod_bf16_0_0_4v@rel32@lo+4
	s_addc_u32 s17, s17, _Z46ncclDevFunc_Reduce_RING_SIMPLE_Prod_bf16_0_0_4v@rel32@hi+12
	s_mov_b64 s[4:5], s[48:49]
	s_mov_b64 s[6:7], s[38:39]
	;; [unrolled: 1-line block ×3, first 2 shown]
	s_mov_b32 s12, s55
	s_mov_b32 s13, s54
	;; [unrolled: 1-line block ×3, first 2 shown]
	v_mov_b32_e32 v31, v40
	s_swappc_b64 s[30:31], s[16:17]
.LBB2_505:                              ;   in Loop: Header=BB2_82 Depth=1
	s_mov_b64 s[4:5], 0
.LBB2_506:                              ;   in Loop: Header=BB2_82 Depth=1
	s_and_b64 vcc, exec, s[4:5]
	s_cbranch_vccz .LBB2_515
; %bb.507:                              ;   in Loop: Header=BB2_82 Depth=1
	s_sext_i32_i16 s4, s70
	s_cmp_lt_i32 s4, 17
	s_mov_b64 s[4:5], -1
	s_cbranch_scc1 .LBB2_513
; %bb.508:                              ;   in Loop: Header=BB2_82 Depth=1
	s_cmp_lg_u32 s71, 17
	s_cbranch_scc0 .LBB2_510
; %bb.509:                              ;   in Loop: Header=BB2_82 Depth=1
	s_add_u32 s8, s36, 0x1000
	s_addc_u32 s9, s37, 0
	s_getpc_b64 s[16:17]
	s_add_u32 s16, s16, _Z45ncclDevFunc_Reduce_RING_SIMPLE_Prod_f64_0_0_4v@rel32@lo+4
	s_addc_u32 s17, s17, _Z45ncclDevFunc_Reduce_RING_SIMPLE_Prod_f64_0_0_4v@rel32@hi+12
	s_mov_b64 s[4:5], s[48:49]
	s_mov_b64 s[6:7], s[38:39]
	;; [unrolled: 1-line block ×3, first 2 shown]
	s_mov_b32 s12, s55
	s_mov_b32 s13, s54
	s_mov_b32 s14, s33
	v_mov_b32_e32 v31, v40
	s_swappc_b64 s[30:31], s[16:17]
	s_mov_b64 s[4:5], 0
.LBB2_510:                              ;   in Loop: Header=BB2_82 Depth=1
	s_andn2_b64 vcc, exec, s[4:5]
	s_cbranch_vccnz .LBB2_512
; %bb.511:                              ;   in Loop: Header=BB2_82 Depth=1
	s_add_u32 s8, s36, 0x1000
	s_addc_u32 s9, s37, 0
	s_getpc_b64 s[16:17]
	s_add_u32 s16, s16, _Z45ncclDevFunc_Reduce_RING_SIMPLE_Prod_f32_0_0_4v@rel32@lo+4
	s_addc_u32 s17, s17, _Z45ncclDevFunc_Reduce_RING_SIMPLE_Prod_f32_0_0_4v@rel32@hi+12
	s_mov_b64 s[4:5], s[48:49]
	s_mov_b64 s[6:7], s[38:39]
	;; [unrolled: 1-line block ×3, first 2 shown]
	s_mov_b32 s12, s55
	s_mov_b32 s13, s54
	;; [unrolled: 1-line block ×3, first 2 shown]
	v_mov_b32_e32 v31, v40
	s_swappc_b64 s[30:31], s[16:17]
.LBB2_512:                              ;   in Loop: Header=BB2_82 Depth=1
	s_mov_b64 s[4:5], 0
.LBB2_513:                              ;   in Loop: Header=BB2_82 Depth=1
	s_andn2_b64 vcc, exec, s[4:5]
	s_cbranch_vccnz .LBB2_515
; %bb.514:                              ;   in Loop: Header=BB2_82 Depth=1
	s_add_u32 s8, s36, 0x1000
	s_addc_u32 s9, s37, 0
	s_getpc_b64 s[16:17]
	s_add_u32 s16, s16, _Z45ncclDevFunc_Reduce_RING_SIMPLE_Prod_f16_0_0_4v@rel32@lo+4
	s_addc_u32 s17, s17, _Z45ncclDevFunc_Reduce_RING_SIMPLE_Prod_f16_0_0_4v@rel32@hi+12
	s_mov_b64 s[4:5], s[48:49]
	s_mov_b64 s[6:7], s[38:39]
	s_mov_b64 s[10:11], s[34:35]
	s_mov_b32 s12, s55
	s_mov_b32 s13, s54
	;; [unrolled: 1-line block ×3, first 2 shown]
	v_mov_b32_e32 v31, v40
	s_swappc_b64 s[30:31], s[16:17]
.LBB2_515:                              ;   in Loop: Header=BB2_82 Depth=1
	s_mov_b64 s[4:5], 0
.LBB2_516:                              ;   in Loop: Header=BB2_82 Depth=1
	s_andn2_b64 vcc, exec, s[4:5]
	s_cbranch_vccnz .LBB2_532
; %bb.517:                              ;   in Loop: Header=BB2_82 Depth=1
	s_cmp_gt_u32 s71, 12
	s_mov_b64 s[4:5], -1
	s_cbranch_scc0 .LBB2_527
; %bb.518:                              ;   in Loop: Header=BB2_82 Depth=1
	s_sext_i32_i16 s4, s70
	s_cmp_lt_i32 s4, 14
	s_mov_b64 s[4:5], -1
	s_cbranch_scc1 .LBB2_524
; %bb.519:                              ;   in Loop: Header=BB2_82 Depth=1
	s_cmp_lg_u32 s71, 14
	s_cbranch_scc0 .LBB2_521
; %bb.520:                              ;   in Loop: Header=BB2_82 Depth=1
	s_add_u32 s8, s36, 0x1000
	s_addc_u32 s9, s37, 0
	s_getpc_b64 s[16:17]
	s_add_u32 s16, s16, _Z45ncclDevFunc_Reduce_RING_SIMPLE_Prod_u64_0_0_4v@rel32@lo+4
	s_addc_u32 s17, s17, _Z45ncclDevFunc_Reduce_RING_SIMPLE_Prod_u64_0_0_4v@rel32@hi+12
	s_mov_b64 s[4:5], s[48:49]
	s_mov_b64 s[6:7], s[38:39]
	s_mov_b64 s[10:11], s[34:35]
	s_mov_b32 s12, s55
	s_mov_b32 s13, s54
	;; [unrolled: 1-line block ×3, first 2 shown]
	v_mov_b32_e32 v31, v40
	s_swappc_b64 s[30:31], s[16:17]
	s_mov_b64 s[4:5], 0
.LBB2_521:                              ;   in Loop: Header=BB2_82 Depth=1
	s_andn2_b64 vcc, exec, s[4:5]
	s_cbranch_vccnz .LBB2_523
; %bb.522:                              ;   in Loop: Header=BB2_82 Depth=1
	s_add_u32 s8, s36, 0x1000
	s_addc_u32 s9, s37, 0
	s_getpc_b64 s[16:17]
	s_add_u32 s16, s16, _Z45ncclDevFunc_Reduce_RING_SIMPLE_Prod_u32_0_0_4v@rel32@lo+4
	s_addc_u32 s17, s17, _Z45ncclDevFunc_Reduce_RING_SIMPLE_Prod_u32_0_0_4v@rel32@hi+12
	s_mov_b64 s[4:5], s[48:49]
	s_mov_b64 s[6:7], s[38:39]
	;; [unrolled: 1-line block ×3, first 2 shown]
	s_mov_b32 s12, s55
	s_mov_b32 s13, s54
	;; [unrolled: 1-line block ×3, first 2 shown]
	v_mov_b32_e32 v31, v40
	s_swappc_b64 s[30:31], s[16:17]
.LBB2_523:                              ;   in Loop: Header=BB2_82 Depth=1
	s_mov_b64 s[4:5], 0
.LBB2_524:                              ;   in Loop: Header=BB2_82 Depth=1
	s_andn2_b64 vcc, exec, s[4:5]
	s_cbranch_vccnz .LBB2_526
; %bb.525:                              ;   in Loop: Header=BB2_82 Depth=1
	s_add_u32 s8, s36, 0x1000
	s_addc_u32 s9, s37, 0
	s_getpc_b64 s[16:17]
	s_add_u32 s16, s16, _Z44ncclDevFunc_Reduce_RING_SIMPLE_Prod_u8_0_0_4v@rel32@lo+4
	s_addc_u32 s17, s17, _Z44ncclDevFunc_Reduce_RING_SIMPLE_Prod_u8_0_0_4v@rel32@hi+12
	s_mov_b64 s[4:5], s[48:49]
	s_mov_b64 s[6:7], s[38:39]
	;; [unrolled: 1-line block ×3, first 2 shown]
	s_mov_b32 s12, s55
	s_mov_b32 s13, s54
	;; [unrolled: 1-line block ×3, first 2 shown]
	v_mov_b32_e32 v31, v40
	s_swappc_b64 s[30:31], s[16:17]
.LBB2_526:                              ;   in Loop: Header=BB2_82 Depth=1
	s_mov_b64 s[4:5], 0
.LBB2_527:                              ;   in Loop: Header=BB2_82 Depth=1
	s_and_b64 vcc, exec, s[4:5]
	s_cbranch_vccz .LBB2_532
; %bb.528:                              ;   in Loop: Header=BB2_82 Depth=1
	s_cmp_eq_u32 s71, 12
	s_mov_b64 s[4:5], -1
	s_cbranch_scc1 .LBB2_530
; %bb.529:                              ;   in Loop: Header=BB2_82 Depth=1
	s_add_u32 s8, s36, 0x1000
	s_addc_u32 s9, s37, 0
	s_getpc_b64 s[16:17]
	s_add_u32 s16, s16, _Z47ncclDevFunc_Reduce_RING_SIMPLE_Sum_f8e4m3_0_0_4v@rel32@lo+4
	s_addc_u32 s17, s17, _Z47ncclDevFunc_Reduce_RING_SIMPLE_Sum_f8e4m3_0_0_4v@rel32@hi+12
	s_mov_b64 s[4:5], s[48:49]
	s_mov_b64 s[6:7], s[38:39]
	;; [unrolled: 1-line block ×3, first 2 shown]
	s_mov_b32 s12, s55
	s_mov_b32 s13, s54
	;; [unrolled: 1-line block ×3, first 2 shown]
	v_mov_b32_e32 v31, v40
	s_swappc_b64 s[30:31], s[16:17]
	s_mov_b64 s[4:5], 0
.LBB2_530:                              ;   in Loop: Header=BB2_82 Depth=1
	s_andn2_b64 vcc, exec, s[4:5]
	s_cbranch_vccnz .LBB2_532
; %bb.531:                              ;   in Loop: Header=BB2_82 Depth=1
	s_add_u32 s8, s36, 0x1000
	s_addc_u32 s9, s37, 0
	s_getpc_b64 s[16:17]
	s_add_u32 s16, s16, _Z47ncclDevFunc_Reduce_RING_SIMPLE_Sum_f8e5m2_0_0_4v@rel32@lo+4
	s_addc_u32 s17, s17, _Z47ncclDevFunc_Reduce_RING_SIMPLE_Sum_f8e5m2_0_0_4v@rel32@hi+12
	s_mov_b64 s[4:5], s[48:49]
	s_mov_b64 s[6:7], s[38:39]
	;; [unrolled: 1-line block ×3, first 2 shown]
	s_mov_b32 s12, s55
	s_mov_b32 s13, s54
	;; [unrolled: 1-line block ×3, first 2 shown]
	v_mov_b32_e32 v31, v40
	s_swappc_b64 s[30:31], s[16:17]
.LBB2_532:                              ;   in Loop: Header=BB2_82 Depth=1
	s_mov_b64 s[4:5], 0
.LBB2_533:                              ;   in Loop: Header=BB2_82 Depth=1
	s_andn2_b64 vcc, exec, s[4:5]
	s_cbranch_vccnz .LBB2_568
; %bb.534:                              ;   in Loop: Header=BB2_82 Depth=1
	s_cmp_gt_u32 s71, 4
	s_mov_b64 s[4:5], -1
	s_cbranch_scc0 .LBB2_555
; %bb.535:                              ;   in Loop: Header=BB2_82 Depth=1
	s_cmp_gt_u32 s71, 7
	s_cbranch_scc0 .LBB2_545
; %bb.536:                              ;   in Loop: Header=BB2_82 Depth=1
	s_sext_i32_i16 s4, s70
	s_cmp_lt_i32 s4, 9
	s_mov_b64 s[4:5], -1
	s_cbranch_scc1 .LBB2_542
; %bb.537:                              ;   in Loop: Header=BB2_82 Depth=1
	s_cmp_lg_u32 s71, 9
	s_cbranch_scc0 .LBB2_539
; %bb.538:                              ;   in Loop: Header=BB2_82 Depth=1
	s_add_u32 s8, s36, 0x1000
	s_addc_u32 s9, s37, 0
	s_getpc_b64 s[16:17]
	s_add_u32 s16, s16, _Z45ncclDevFunc_Reduce_RING_SIMPLE_Sum_bf16_0_1_4v@rel32@lo+4
	s_addc_u32 s17, s17, _Z45ncclDevFunc_Reduce_RING_SIMPLE_Sum_bf16_0_1_4v@rel32@hi+12
	s_mov_b64 s[4:5], s[48:49]
	s_mov_b64 s[6:7], s[38:39]
	;; [unrolled: 1-line block ×3, first 2 shown]
	s_mov_b32 s12, s55
	s_mov_b32 s13, s54
	s_mov_b32 s14, s33
	v_mov_b32_e32 v31, v40
	s_swappc_b64 s[30:31], s[16:17]
	s_mov_b64 s[4:5], 0
.LBB2_539:                              ;   in Loop: Header=BB2_82 Depth=1
	s_andn2_b64 vcc, exec, s[4:5]
	s_cbranch_vccnz .LBB2_541
; %bb.540:                              ;   in Loop: Header=BB2_82 Depth=1
	s_add_u32 s8, s36, 0x1000
	s_addc_u32 s9, s37, 0
	s_getpc_b64 s[16:17]
	s_add_u32 s16, s16, _Z45ncclDevFunc_Reduce_RING_SIMPLE_Sum_bf16_0_0_4v@rel32@lo+4
	s_addc_u32 s17, s17, _Z45ncclDevFunc_Reduce_RING_SIMPLE_Sum_bf16_0_0_4v@rel32@hi+12
	s_mov_b64 s[4:5], s[48:49]
	s_mov_b64 s[6:7], s[38:39]
	;; [unrolled: 1-line block ×3, first 2 shown]
	s_mov_b32 s12, s55
	s_mov_b32 s13, s54
	;; [unrolled: 1-line block ×3, first 2 shown]
	v_mov_b32_e32 v31, v40
	s_swappc_b64 s[30:31], s[16:17]
.LBB2_541:                              ;   in Loop: Header=BB2_82 Depth=1
	s_mov_b64 s[4:5], 0
.LBB2_542:                              ;   in Loop: Header=BB2_82 Depth=1
	s_andn2_b64 vcc, exec, s[4:5]
	s_cbranch_vccnz .LBB2_544
; %bb.543:                              ;   in Loop: Header=BB2_82 Depth=1
	s_add_u32 s8, s36, 0x1000
	s_addc_u32 s9, s37, 0
	s_getpc_b64 s[16:17]
	s_add_u32 s16, s16, _Z44ncclDevFunc_Reduce_RING_SIMPLE_Sum_f64_0_0_4v@rel32@lo+4
	s_addc_u32 s17, s17, _Z44ncclDevFunc_Reduce_RING_SIMPLE_Sum_f64_0_0_4v@rel32@hi+12
	s_mov_b64 s[4:5], s[48:49]
	s_mov_b64 s[6:7], s[38:39]
	;; [unrolled: 1-line block ×3, first 2 shown]
	s_mov_b32 s12, s55
	s_mov_b32 s13, s54
	;; [unrolled: 1-line block ×3, first 2 shown]
	v_mov_b32_e32 v31, v40
	s_swappc_b64 s[30:31], s[16:17]
.LBB2_544:                              ;   in Loop: Header=BB2_82 Depth=1
	s_mov_b64 s[4:5], 0
.LBB2_545:                              ;   in Loop: Header=BB2_82 Depth=1
	s_and_b64 vcc, exec, s[4:5]
	s_cbranch_vccz .LBB2_554
; %bb.546:                              ;   in Loop: Header=BB2_82 Depth=1
	s_sext_i32_i16 s4, s70
	s_cmp_lt_i32 s4, 6
	s_mov_b64 s[4:5], -1
	s_cbranch_scc1 .LBB2_552
; %bb.547:                              ;   in Loop: Header=BB2_82 Depth=1
	s_cmp_lg_u32 s71, 6
	s_cbranch_scc0 .LBB2_549
; %bb.548:                              ;   in Loop: Header=BB2_82 Depth=1
	s_add_u32 s8, s36, 0x1000
	s_addc_u32 s9, s37, 0
	s_getpc_b64 s[16:17]
	s_add_u32 s16, s16, _Z44ncclDevFunc_Reduce_RING_SIMPLE_Sum_f32_0_0_4v@rel32@lo+4
	s_addc_u32 s17, s17, _Z44ncclDevFunc_Reduce_RING_SIMPLE_Sum_f32_0_0_4v@rel32@hi+12
	s_mov_b64 s[4:5], s[48:49]
	s_mov_b64 s[6:7], s[38:39]
	;; [unrolled: 1-line block ×3, first 2 shown]
	s_mov_b32 s12, s55
	s_mov_b32 s13, s54
	;; [unrolled: 1-line block ×3, first 2 shown]
	v_mov_b32_e32 v31, v40
	s_swappc_b64 s[30:31], s[16:17]
	s_mov_b64 s[4:5], 0
.LBB2_549:                              ;   in Loop: Header=BB2_82 Depth=1
	s_andn2_b64 vcc, exec, s[4:5]
	s_cbranch_vccnz .LBB2_551
; %bb.550:                              ;   in Loop: Header=BB2_82 Depth=1
	s_add_u32 s8, s36, 0x1000
	s_addc_u32 s9, s37, 0
	s_getpc_b64 s[16:17]
	s_add_u32 s16, s16, _Z44ncclDevFunc_Reduce_RING_SIMPLE_Sum_f16_0_0_4v@rel32@lo+4
	s_addc_u32 s17, s17, _Z44ncclDevFunc_Reduce_RING_SIMPLE_Sum_f16_0_0_4v@rel32@hi+12
	s_mov_b64 s[4:5], s[48:49]
	s_mov_b64 s[6:7], s[38:39]
	;; [unrolled: 1-line block ×3, first 2 shown]
	s_mov_b32 s12, s55
	s_mov_b32 s13, s54
	;; [unrolled: 1-line block ×3, first 2 shown]
	v_mov_b32_e32 v31, v40
	s_swappc_b64 s[30:31], s[16:17]
.LBB2_551:                              ;   in Loop: Header=BB2_82 Depth=1
	s_mov_b64 s[4:5], 0
.LBB2_552:                              ;   in Loop: Header=BB2_82 Depth=1
	s_andn2_b64 vcc, exec, s[4:5]
	s_cbranch_vccnz .LBB2_554
; %bb.553:                              ;   in Loop: Header=BB2_82 Depth=1
	s_add_u32 s8, s36, 0x1000
	s_addc_u32 s9, s37, 0
	s_getpc_b64 s[16:17]
	s_add_u32 s16, s16, _Z44ncclDevFunc_Reduce_RING_SIMPLE_Sum_u64_0_0_4v@rel32@lo+4
	s_addc_u32 s17, s17, _Z44ncclDevFunc_Reduce_RING_SIMPLE_Sum_u64_0_0_4v@rel32@hi+12
	s_mov_b64 s[4:5], s[48:49]
	s_mov_b64 s[6:7], s[38:39]
	;; [unrolled: 1-line block ×3, first 2 shown]
	s_mov_b32 s12, s55
	s_mov_b32 s13, s54
	;; [unrolled: 1-line block ×3, first 2 shown]
	v_mov_b32_e32 v31, v40
	s_swappc_b64 s[30:31], s[16:17]
.LBB2_554:                              ;   in Loop: Header=BB2_82 Depth=1
	s_mov_b64 s[4:5], 0
.LBB2_555:                              ;   in Loop: Header=BB2_82 Depth=1
	s_andn2_b64 vcc, exec, s[4:5]
	s_cbranch_vccnz .LBB2_568
; %bb.556:                              ;   in Loop: Header=BB2_82 Depth=1
	s_cmp_gt_u32 s71, 1
	s_mov_b64 s[4:5], -1
	s_cbranch_scc0 .LBB2_566
; %bb.557:                              ;   in Loop: Header=BB2_82 Depth=1
	s_sext_i32_i16 s4, s70
	s_cmp_lt_i32 s4, 3
	s_mov_b64 s[4:5], -1
	s_cbranch_scc1 .LBB2_563
; %bb.558:                              ;   in Loop: Header=BB2_82 Depth=1
	s_cmp_lg_u32 s71, 3
	s_cbranch_scc0 .LBB2_560
; %bb.559:                              ;   in Loop: Header=BB2_82 Depth=1
	s_add_u32 s8, s36, 0x1000
	s_addc_u32 s9, s37, 0
	s_getpc_b64 s[16:17]
	s_add_u32 s16, s16, _Z44ncclDevFunc_Reduce_RING_SIMPLE_Sum_u32_0_0_4v@rel32@lo+4
	s_addc_u32 s17, s17, _Z44ncclDevFunc_Reduce_RING_SIMPLE_Sum_u32_0_0_4v@rel32@hi+12
	s_mov_b64 s[4:5], s[48:49]
	s_mov_b64 s[6:7], s[38:39]
	;; [unrolled: 1-line block ×3, first 2 shown]
	s_mov_b32 s12, s55
	s_mov_b32 s13, s54
	;; [unrolled: 1-line block ×3, first 2 shown]
	v_mov_b32_e32 v31, v40
	s_swappc_b64 s[30:31], s[16:17]
	s_mov_b64 s[4:5], 0
.LBB2_560:                              ;   in Loop: Header=BB2_82 Depth=1
	s_andn2_b64 vcc, exec, s[4:5]
	s_cbranch_vccnz .LBB2_562
; %bb.561:                              ;   in Loop: Header=BB2_82 Depth=1
	s_add_u32 s8, s36, 0x1000
	s_addc_u32 s9, s37, 0
	s_getpc_b64 s[16:17]
	s_add_u32 s16, s16, _Z43ncclDevFunc_Reduce_RING_SIMPLE_Sum_u8_0_0_4v@rel32@lo+4
	s_addc_u32 s17, s17, _Z43ncclDevFunc_Reduce_RING_SIMPLE_Sum_u8_0_0_4v@rel32@hi+12
	s_mov_b64 s[4:5], s[48:49]
	s_mov_b64 s[6:7], s[38:39]
	;; [unrolled: 1-line block ×3, first 2 shown]
	s_mov_b32 s12, s55
	s_mov_b32 s13, s54
	s_mov_b32 s14, s33
	v_mov_b32_e32 v31, v40
	s_swappc_b64 s[30:31], s[16:17]
.LBB2_562:                              ;   in Loop: Header=BB2_82 Depth=1
	s_mov_b64 s[4:5], 0
.LBB2_563:                              ;   in Loop: Header=BB2_82 Depth=1
	s_andn2_b64 vcc, exec, s[4:5]
	s_cbranch_vccnz .LBB2_565
; %bb.564:                              ;   in Loop: Header=BB2_82 Depth=1
	s_add_u32 s8, s36, 0x1000
	s_addc_u32 s9, s37, 0
	s_getpc_b64 s[16:17]
	s_add_u32 s16, s16, _Z46ncclDevFunc_Broadcast_RING_SIMPLE_Sum_i8_0_0_4v@rel32@lo+4
	s_addc_u32 s17, s17, _Z46ncclDevFunc_Broadcast_RING_SIMPLE_Sum_i8_0_0_4v@rel32@hi+12
	s_mov_b64 s[4:5], s[48:49]
	s_mov_b64 s[6:7], s[38:39]
	;; [unrolled: 1-line block ×3, first 2 shown]
	s_mov_b32 s12, s55
	s_mov_b32 s13, s54
	s_mov_b32 s14, s33
	v_mov_b32_e32 v31, v40
	s_swappc_b64 s[30:31], s[16:17]
.LBB2_565:                              ;   in Loop: Header=BB2_82 Depth=1
	s_mov_b64 s[4:5], 0
.LBB2_566:                              ;   in Loop: Header=BB2_82 Depth=1
	s_and_b64 vcc, exec, s[4:5]
	s_cbranch_vccz .LBB2_568
; %bb.567:                              ;   in Loop: Header=BB2_82 Depth=1
	s_add_u32 s8, s36, 0x1000
	s_addc_u32 s9, s37, 0
	s_getpc_b64 s[16:17]
	s_add_u32 s16, s16, _Z42ncclDevFunc_Broadcast_RING_LL_Sum_i8_0_0_4v@rel32@lo+4
	s_addc_u32 s17, s17, _Z42ncclDevFunc_Broadcast_RING_LL_Sum_i8_0_0_4v@rel32@hi+12
	s_mov_b64 s[4:5], s[48:49]
	s_mov_b64 s[6:7], s[38:39]
	s_mov_b64 s[10:11], s[34:35]
	s_mov_b32 s12, s55
	s_mov_b32 s13, s54
	;; [unrolled: 1-line block ×3, first 2 shown]
	v_mov_b32_e32 v31, v40
	s_swappc_b64 s[30:31], s[16:17]
.LBB2_568:                              ;   in Loop: Header=BB2_82 Depth=1
	ds_read_b32 v0, v41 offset:16996
	s_waitcnt lgkmcnt(0)
	v_cmp_eq_u32_e32 vcc, -1, v0
	v_readfirstlane_b32 s12, v0
	s_cbranch_vccnz .LBB2_583
; %bb.569:                              ;   in Loop: Header=BB2_82 Depth=1
	s_waitcnt vmcnt(0)
	s_barrier
	s_and_saveexec_b64 s[4:5], s[64:65]
	s_cbranch_execz .LBB2_573
; %bb.570:                              ;   in Loop: Header=BB2_82 Depth=1
	s_and_saveexec_b64 s[6:7], s[52:53]
; %bb.571:                              ;   in Loop: Header=BB2_82 Depth=1
	v_mov_b32_e32 v42, v41
	ds_write_b64 v41, v[41:42] offset:19736
; %bb.572:                              ;   in Loop: Header=BB2_82 Depth=1
	s_or_b64 exec, exec, s[6:7]
	v_mov_b32_e32 v42, v41
	ds_write_b64 v45, v[41:42]
.LBB2_573:                              ;   in Loop: Header=BB2_82 Depth=1
	s_or_b64 exec, exec, s[4:5]
	s_and_saveexec_b64 s[4:5], s[50:51]
	s_cbranch_execz .LBB2_585
; %bb.574:                              ;   in Loop: Header=BB2_82 Depth=1
	ds_read_b64 v[2:3], v41 offset:16976
	ds_read_b32 v6, v41 offset:17004
	s_waitcnt lgkmcnt(1)
	v_add_co_u32_e32 v0, vcc, 1, v2
	v_addc_co_u32_e32 v1, vcc, 0, v3, vcc
	s_waitcnt lgkmcnt(0)
	v_ashrrev_i32_e32 v5, 31, v6
	v_add_co_u32_e32 v4, vcc, v2, v6
	v_addc_co_u32_e32 v5, vcc, v3, v5, vcc
	v_cmp_gt_u64_e32 vcc, v[0:1], v[4:5]
	s_cbranch_vccnz .LBB2_584
; %bb.575:                              ;   in Loop: Header=BB2_82 Depth=1
	ds_read_u8 v7, v41 offset:17000
	s_movk_i32 s8, 0x494e
	s_movk_i32 s9, 0x491a
	s_branch .LBB2_577
.LBB2_576:                              ;   in Loop: Header=BB2_577 Depth=2
	v_add_co_u32_e32 v0, vcc, 1, v0
	v_addc_co_u32_e32 v1, vcc, 0, v1, vcc
	s_waitcnt lgkmcnt(0)
	v_ashrrev_i32_e32 v5, 31, v6
	v_add_co_u32_e32 v4, vcc, v2, v6
	v_addc_co_u32_e32 v5, vcc, v3, v5, vcc
	v_cmp_le_u64_e32 vcc, v[0:1], v[4:5]
	s_add_i32 s8, s8, 64
	s_addk_i32 s9, 0x80
	s_cbranch_vccz .LBB2_584
.LBB2_577:                              ;   Parent Loop BB2_82 Depth=1
                                        ; =>  This Inner Loop Header: Depth=2
	s_waitcnt lgkmcnt(0)
	v_cmp_ne_u32_sdwa s[6:7], v7, v41 src0_sel:BYTE_0 src1_sel:DWORD
	s_and_b64 vcc, exec, s[6:7]
	s_cbranch_vccz .LBB2_582
; %bb.578:                              ;   in Loop: Header=BB2_577 Depth=2
	v_mov_b32_e32 v4, s9
	ds_read_u8 v4, v4
	s_waitcnt lgkmcnt(0)
	v_and_b32_e32 v4, 1, v4
	s_cbranch_execnz .LBB2_580
.LBB2_579:                              ;   in Loop: Header=BB2_577 Depth=2
	v_mov_b32_e32 v4, s8
	ds_read_u16 v4, v4
	s_waitcnt lgkmcnt(0)
	v_bfe_u32 v4, v4, 6, 1
.LBB2_580:                              ;   in Loop: Header=BB2_577 Depth=2
	v_cmp_eq_u32_e32 vcc, 0, v4
	s_cbranch_vccnz .LBB2_576
; %bb.581:                              ;   in Loop: Header=BB2_577 Depth=2
	s_memrealtime s[6:7]
	ds_read_u8 v7, v41 offset:17000
	ds_read_b32 v2, v41 offset:16496
	ds_read_b64 v[4:5], v41 offset:16600
	s_waitcnt lgkmcnt(0)
	v_ashrrev_i32_e32 v3, 31, v2
	v_lshlrev_b64 v[2:3], 10, v[2:3]
	v_add_co_u32_e32 v2, vcc, v4, v2
	v_and_b32_e32 v4, 63, v0
	v_addc_co_u32_e32 v3, vcc, v5, v3, vcc
	v_lshlrev_b32_e32 v4, 4, v4
	v_add_co_u32_e32 v4, vcc, v2, v4
	v_addc_co_u32_e32 v5, vcc, 0, v3, vcc
	v_mov_b32_e32 v2, s6
	v_mov_b32_e32 v3, s7
	flat_store_dwordx4 v[4:5], v[0:3]
	ds_read_b64 v[2:3], v41 offset:16976
	ds_read_b32 v6, v41 offset:17004
	s_branch .LBB2_576
.LBB2_582:                              ;   in Loop: Header=BB2_577 Depth=2
                                        ; implicit-def: $vgpr4
	s_branch .LBB2_579
.LBB2_583:                              ;   in Loop: Header=BB2_82 Depth=1
	s_cbranch_execz .LBB2_82
	s_branch .LBB2_68
.LBB2_584:                              ;   in Loop: Header=BB2_82 Depth=1
	ds_write_b64 v41, v[4:5] offset:16976
.LBB2_585:                              ;   in Loop: Header=BB2_82 Depth=1
	s_or_b64 exec, exec, s[4:5]
	s_mov_b32 s16, 0
	v_mov_b32_e32 v9, v46
                                        ; implicit-def: $vgpr0_vgpr1_vgpr2_vgpr3
	s_branch .LBB2_588
.LBB2_586:                              ;   in Loop: Header=BB2_588 Depth=2
	s_or_b64 exec, exec, s[10:11]
	s_mov_b32 s9, s12
	v_mov_b32_e32 v4, v9
.LBB2_587:                              ;   in Loop: Header=BB2_588 Depth=2
	s_andn2_b64 vcc, exec, s[6:7]
	s_mov_b32 s12, s9
	v_mov_b32_e32 v9, v4
	s_cbranch_vccz .LBB2_81
.LBB2_588:                              ;   Parent Loop BB2_82 Depth=1
                                        ; =>  This Inner Loop Header: Depth=2
	s_ashr_i32 s13, s12, 31
	s_lshl_b64 s[4:5], s[12:13], 4
	s_add_u32 s4, s36, s4
	s_addc_u32 s5, s37, s5
	s_load_dwordx4 s[8:11], s[4:5], 0x30
	s_waitcnt lgkmcnt(0)
	v_and_b32_e32 v5, s11, v44
	v_and_b32_e32 v4, s10, v43
	v_cmp_ne_u64_e32 vcc, 0, v[4:5]
	s_and_saveexec_b64 s[4:5], vcc
	s_cbranch_execz .LBB2_590
; %bb.589:                              ;   in Loop: Header=BB2_588 Depth=2
	v_and_b32_e32 v5, s10, v56
	v_and_b32_e32 v4, s11, v57
	v_bcnt_u32_b32 v5, v5, 0
	v_bcnt_u32_b32 v4, v4, v5
	v_add_u32_e32 v4, v47, v4
	ds_write_b8 v4, v46
.LBB2_590:                              ;   in Loop: Header=BB2_588 Depth=2
	s_or_b64 exec, exec, s[4:5]
	s_bcnt1_i32_b64 s17, s[10:11]
	s_bfe_u32 s13, s8, 0x2000f
	s_cmp_lt_i32 s13, 1
	s_mov_b64 s[4:5], -1
                                        ; implicit-def: $vgpr10
                                        ; implicit-def: $vgpr11
                                        ; implicit-def: $vgpr4
                                        ; implicit-def: $vgpr12
	s_cbranch_scc1 .LBB2_598
; %bb.591:                              ;   in Loop: Header=BB2_588 Depth=2
	s_cmp_lg_u32 s13, 1
                                        ; implicit-def: $vgpr10
                                        ; implicit-def: $vgpr11
                                        ; implicit-def: $vgpr4
	s_cbranch_scc0 .LBB2_593
; %bb.592:                              ;   in Loop: Header=BB2_588 Depth=2
	v_mul_hi_i32 v4, v9, s68
	s_mov_b64 s[4:5], 0
	v_lshrrev_b32_e32 v5, 31, v4
	v_ashrrev_i32_e32 v4, 3, v4
	v_add_u32_e32 v10, v4, v5
	v_mul_lo_u32 v5, v10, 20
	v_mul_u32_u24_e64 v4, s17, 20
	v_sub_u32_e32 v11, v9, v5
.LBB2_593:                              ;   in Loop: Header=BB2_588 Depth=2
	s_andn2_b64 vcc, exec, s[4:5]
	s_movk_i32 s6, 0x140
	s_cbranch_vccnz .LBB2_595
; %bb.594:                              ;   in Loop: Header=BB2_588 Depth=2
	v_ashrrev_i32_e32 v4, 31, v9
	v_lshrrev_b32_e32 v4, 29, v4
	v_add_u32_e32 v4, v9, v4
	s_lshl_b32 s4, s17, 3
	v_ashrrev_i32_e32 v10, 3, v4
	v_and_b32_e32 v4, -8, v4
	v_sub_u32_e32 v11, v9, v4
	s_movk_i32 s6, 0x80
	v_mov_b32_e32 v4, s4
.LBB2_595:                              ;   in Loop: Header=BB2_588 Depth=2
	v_mov_b32_e32 v12, s6
	s_cbranch_execz .LBB2_599
.LBB2_596:                              ;   in Loop: Header=BB2_588 Depth=2
	v_cmp_eq_u32_e64 s[4:5], 0, v9
	s_and_saveexec_b64 s[6:7], s[4:5]
	s_cbranch_execz .LBB2_600
.LBB2_597:                              ;   in Loop: Header=BB2_588 Depth=2
	ds_write_b32 v41, v12 offset:17008
	s_or_b64 exec, exec, s[6:7]
	v_cmp_lt_i32_e32 vcc, v9, v4
	s_and_saveexec_b64 s[10:11], vcc
	s_cbranch_execz .LBB2_608
	s_branch .LBB2_601
.LBB2_598:                              ;   in Loop: Header=BB2_588 Depth=2
	s_andn2_b64 vcc, exec, s[4:5]
	s_cbranch_vccnz .LBB2_596
.LBB2_599:                              ;   in Loop: Header=BB2_588 Depth=2
	v_ashrrev_i32_e32 v4, 31, v9
	v_lshrrev_b32_e32 v4, 30, v4
	v_add_u32_e32 v4, v9, v4
	s_lshl_b32 s4, s17, 2
	v_ashrrev_i32_e32 v10, 2, v4
	v_and_b32_e32 v4, -4, v4
	v_sub_u32_e32 v11, v9, v4
	v_mov_b32_e32 v12, 64
	v_mov_b32_e32 v4, s4
	v_cmp_eq_u32_e64 s[4:5], 0, v9
	s_and_saveexec_b64 s[6:7], s[4:5]
	s_cbranch_execnz .LBB2_597
.LBB2_600:                              ;   in Loop: Header=BB2_588 Depth=2
	s_or_b64 exec, exec, s[6:7]
	v_cmp_lt_i32_e32 vcc, v9, v4
	s_and_saveexec_b64 s[10:11], vcc
	s_cbranch_execz .LBB2_608
.LBB2_601:                              ;   in Loop: Header=BB2_588 Depth=2
	ds_read_u8 v4, v41 offset:16472
	v_add_u32_e32 v5, v47, v10
	ds_read_u8 v14, v5
	v_lshlrev_b32_e32 v13, 4, v11
	s_waitcnt lgkmcnt(0)
	v_cmp_ne_u32_e64 s[6:7], 0, v4
	s_and_b64 vcc, exec, s[6:7]
	s_cbranch_vccz .LBB2_604
; %bb.602:                              ;   in Loop: Header=BB2_588 Depth=2
	s_mov_b64 s[14:15], -1
	s_and_b64 vcc, exec, s[6:7]
                                        ; implicit-def: $vgpr4_vgpr5_vgpr6_vgpr7
                                        ; implicit-def: $vgpr8
	s_cbranch_vccz .LBB2_605
.LBB2_603:                              ;   in Loop: Header=BB2_588 Depth=2
	ds_read_b32 v6, v41 offset:16476
	ds_read_b64 v[4:5], v41 offset:16480
	v_mul_u32_u24_e32 v7, v12, v14
	v_lshlrev_b32_e32 v8, 4, v11
	v_add3_u32 v7, v8, s9, v7
	s_waitcnt lgkmcnt(0)
	v_and_b32_e32 v6, v6, v7
	v_add_co_u32_e32 v4, vcc, v4, v6
	v_addc_co_u32_e32 v5, vcc, 0, v5, vcc
	flat_load_dwordx4 v[4:7], v[4:5]
	s_cbranch_execz .LBB2_606
	s_branch .LBB2_607
.LBB2_604:                              ;   in Loop: Header=BB2_588 Depth=2
	v_lshlrev_b32_e32 v0, 4, v11
	v_mul_u32_u24_e32 v1, v12, v14
	v_add3_u32 v0, v0, s9, v1
	global_load_dwordx4 v[0:3], v0, s[36:37]
	s_mov_b64 s[14:15], -1
	s_and_b64 vcc, exec, s[6:7]
                                        ; implicit-def: $vgpr4_vgpr5_vgpr6_vgpr7
                                        ; implicit-def: $vgpr8
	s_cbranch_vccnz .LBB2_603
.LBB2_605:                              ;   in Loop: Header=BB2_588 Depth=2
	s_andn2_b64 vcc, exec, s[14:15]
	s_cbranch_vccnz .LBB2_607
.LBB2_606:                              ;   in Loop: Header=BB2_588 Depth=2
	s_waitcnt vmcnt(0) lgkmcnt(0)
	v_mov_b32_e32 v7, v3
	v_mov_b32_e32 v8, v13
	;; [unrolled: 1-line block ×5, first 2 shown]
.LBB2_607:                              ;   in Loop: Header=BB2_588 Depth=2
	s_waitcnt vmcnt(0)
	v_add_u32_e32 v0, s16, v10
	v_mad_u64_u32 v[0:1], s[6:7], v0, v12, v[8:9]
	s_waitcnt lgkmcnt(0)
	ds_write_b128 v0, v[4:7] offset:18704
	v_mov_b32_e32 v0, v4
	v_mov_b32_e32 v1, v5
	;; [unrolled: 1-line block ×4, first 2 shown]
.LBB2_608:                              ;   in Loop: Header=BB2_588 Depth=2
	s_or_b64 exec, exec, s[10:11]
	s_bitcmp0_b32 s8, 14
	s_cselect_b64 s[6:7], -1, 0
	s_mov_b64 s[10:11], -1
	s_and_b64 vcc, exec, s[6:7]
	v_readfirstlane_b32 s9, v0
                                        ; implicit-def: $vgpr4
	s_cbranch_vccnz .LBB2_610
; %bb.609:                              ;   in Loop: Header=BB2_588 Depth=2
	v_mov_b32_e32 v4, s66
	v_cmp_gt_i32_e32 vcc, 64, v9
	s_and_b32 s9, s8, 0x3fff
	v_cndmask_b32_e32 v4, 0, v4, vcc
	s_add_i32 s9, s9, s12
	v_add3_u32 v4, v9, v4, s69
	s_add_i32 s16, s16, s17
	s_cbranch_execnz .LBB2_587
	s_branch .LBB2_611
.LBB2_610:                              ;   in Loop: Header=BB2_588 Depth=2
	s_andn2_b64 vcc, exec, s[10:11]
	s_add_i32 s16, s16, s17
	s_cbranch_vccnz .LBB2_587
.LBB2_611:                              ;   in Loop: Header=BB2_588 Depth=2
	s_and_saveexec_b64 s[10:11], s[4:5]
	s_cbranch_execz .LBB2_586
; %bb.612:                              ;   in Loop: Header=BB2_588 Depth=2
	s_and_b32 s4, s8, 0x3fff
	s_add_i32 s5, s4, s12
	s_cmp_lg_u32 s4, 0
	s_cselect_b32 s4, s5, -1
	v_mov_b32_e32 v4, s12
	v_mov_b32_e32 v5, s4
	ds_write_b64 v41, v[4:5] offset:16992
	v_mov_b32_e32 v4, s13
	ds_write_b8 v41, v4 offset:17000
	v_mov_b32_e32 v4, s16
	s_lshr_b32 s4, s8, 17
	ds_write_b32 v41, v4 offset:17004
	v_mov_b32_e32 v4, s4
	v_mov_b32_e32 v9, 0
	ds_write_b16 v41, v4 offset:17002
	s_branch .LBB2_586
	.section	.rodata,"a",@progbits
	.p2align	6, 0x0
	.amdhsa_kernel _Z23ncclDevKernel_Generic_424ncclDevKernelArgsStorageILm4096EE
		.amdhsa_group_segment_fixed_size 19744
		.amdhsa_private_segment_fixed_size 0
		.amdhsa_kernarg_size 4352
		.amdhsa_user_sgpr_count 14
		.amdhsa_user_sgpr_private_segment_buffer 1
		.amdhsa_user_sgpr_dispatch_ptr 1
		.amdhsa_user_sgpr_queue_ptr 1
		.amdhsa_user_sgpr_kernarg_segment_ptr 1
		.amdhsa_user_sgpr_dispatch_id 1
		.amdhsa_user_sgpr_flat_scratch_init 1
		.amdhsa_user_sgpr_private_segment_size 0
		.amdhsa_uses_dynamic_stack 1
		.amdhsa_system_sgpr_private_segment_wavefront_offset 1
		.amdhsa_system_sgpr_workgroup_id_x 1
		.amdhsa_system_sgpr_workgroup_id_y 1
		.amdhsa_system_sgpr_workgroup_id_z 1
		.amdhsa_system_sgpr_workgroup_info 0
		.amdhsa_system_vgpr_workitem_id 2
		.amdhsa_next_free_vgpr max(totalnumvgprs(_Z23ncclDevKernel_Generic_424ncclDevKernelArgsStorageILm4096EE.num_agpr, _Z23ncclDevKernel_Generic_424ncclDevKernelArgsStorageILm4096EE.num_vgpr), 1, 65)
		.amdhsa_next_free_sgpr max(_Z23ncclDevKernel_Generic_424ncclDevKernelArgsStorageILm4096EE.numbered_sgpr+6, 1, 102)-6
		.amdhsa_reserve_vcc 1
		.amdhsa_reserve_flat_scratch 1
		.amdhsa_float_round_mode_32 0
		.amdhsa_float_round_mode_16_64 0
		.amdhsa_float_denorm_mode_32 3
		.amdhsa_float_denorm_mode_16_64 3
		.amdhsa_dx10_clamp 1
		.amdhsa_ieee_mode 1
		.amdhsa_fp16_overflow 0
		.amdhsa_exception_fp_ieee_invalid_op 0
		.amdhsa_exception_fp_denorm_src 0
		.amdhsa_exception_fp_ieee_div_zero 0
		.amdhsa_exception_fp_ieee_overflow 0
		.amdhsa_exception_fp_ieee_underflow 0
		.amdhsa_exception_fp_ieee_inexact 0
		.amdhsa_exception_int_div_zero 0
	.end_amdhsa_kernel
	.text
.Lfunc_end2:
	.size	_Z23ncclDevKernel_Generic_424ncclDevKernelArgsStorageILm4096EE, .Lfunc_end2-_Z23ncclDevKernel_Generic_424ncclDevKernelArgsStorageILm4096EE
                                        ; -- End function
	.set _Z23ncclDevKernel_Generic_424ncclDevKernelArgsStorageILm4096EE.num_vgpr, max(58, amdgpu.max_num_vgpr)
	.set _Z23ncclDevKernel_Generic_424ncclDevKernelArgsStorageILm4096EE.num_agpr, max(0, amdgpu.max_num_agpr)
	.set _Z23ncclDevKernel_Generic_424ncclDevKernelArgsStorageILm4096EE.numbered_sgpr, max(72, amdgpu.max_num_sgpr)
	.set _Z23ncclDevKernel_Generic_424ncclDevKernelArgsStorageILm4096EE.num_named_barrier, max(0, amdgpu.max_num_named_barrier)
	.set _Z23ncclDevKernel_Generic_424ncclDevKernelArgsStorageILm4096EE.private_seg_size, 0
	.set _Z23ncclDevKernel_Generic_424ncclDevKernelArgsStorageILm4096EE.uses_vcc, 1
	.set _Z23ncclDevKernel_Generic_424ncclDevKernelArgsStorageILm4096EE.uses_flat_scratch, 1
	.set _Z23ncclDevKernel_Generic_424ncclDevKernelArgsStorageILm4096EE.has_dyn_sized_stack, 1
	.set _Z23ncclDevKernel_Generic_424ncclDevKernelArgsStorageILm4096EE.has_recursion, 1
	.set _Z23ncclDevKernel_Generic_424ncclDevKernelArgsStorageILm4096EE.has_indirect_call, 1
	.section	.AMDGPU.csdata,"",@progbits
; Kernel info:
; codeLenInByte = 15440
; TotalNumSgprs: _Z23ncclDevKernel_Generic_424ncclDevKernelArgsStorageILm4096EE.numbered_sgpr+6
; NumVgprs: _Z23ncclDevKernel_Generic_424ncclDevKernelArgsStorageILm4096EE.num_vgpr
; ScratchSize: 0
; MemoryBound: 0
; FloatMode: 240
; IeeeMode: 1
; LDSByteSize: 19744 bytes/workgroup (compile time only)
; SGPRBlocks: (alignto(max(max(_Z23ncclDevKernel_Generic_424ncclDevKernelArgsStorageILm4096EE.numbered_sgpr+extrasgprs(_Z23ncclDevKernel_Generic_424ncclDevKernelArgsStorageILm4096EE.uses_vcc, _Z23ncclDevKernel_Generic_424ncclDevKernelArgsStorageILm4096EE.uses_flat_scratch, 1), 1, 102), 1), 8)/8)-1
; VGPRBlocks: (alignto(max(max(totalnumvgprs(_Z23ncclDevKernel_Generic_424ncclDevKernelArgsStorageILm4096EE.num_agpr, _Z23ncclDevKernel_Generic_424ncclDevKernelArgsStorageILm4096EE.num_vgpr), 1, 65), 1), 4)/4)-1
; NumSGPRsForWavesPerEU: max(_Z23ncclDevKernel_Generic_424ncclDevKernelArgsStorageILm4096EE.numbered_sgpr+6, 1, 102)
; NumVGPRsForWavesPerEU: max(totalnumvgprs(_Z23ncclDevKernel_Generic_424ncclDevKernelArgsStorageILm4096EE.num_agpr, _Z23ncclDevKernel_Generic_424ncclDevKernelArgsStorageILm4096EE.num_vgpr), 1, 65)
; Occupancy: occupancy(10, 4, 256, 8, 3, max(_Z23ncclDevKernel_Generic_424ncclDevKernelArgsStorageILm4096EE.numbered_sgpr+extrasgprs(_Z23ncclDevKernel_Generic_424ncclDevKernelArgsStorageILm4096EE.uses_vcc, _Z23ncclDevKernel_Generic_424ncclDevKernelArgsStorageILm4096EE.uses_flat_scratch, 1), 1, 102), max(totalnumvgprs(_Z23ncclDevKernel_Generic_424ncclDevKernelArgsStorageILm4096EE.num_agpr, _Z23ncclDevKernel_Generic_424ncclDevKernelArgsStorageILm4096EE.num_vgpr), 1, 65))
; WaveLimiterHint : 0
; COMPUTE_PGM_RSRC2:SCRATCH_EN: 1
; COMPUTE_PGM_RSRC2:USER_SGPR: 14
; COMPUTE_PGM_RSRC2:TRAP_HANDLER: 0
; COMPUTE_PGM_RSRC2:TGID_X_EN: 1
; COMPUTE_PGM_RSRC2:TGID_Y_EN: 1
; COMPUTE_PGM_RSRC2:TGID_Z_EN: 1
; COMPUTE_PGM_RSRC2:TIDIG_COMP_CNT: 2
	.section	.AMDGPU.gpr_maximums,"",@progbits
	.set amdgpu.max_num_vgpr, 0
	.set amdgpu.max_num_agpr, 0
	.set amdgpu.max_num_sgpr, 0
	.section	.AMDGPU.csdata,"",@progbits
	.type	__hip_cuid_296f4fd6a2faf298,@object ; @__hip_cuid_296f4fd6a2faf298
	.section	.bss,"aw",@nobits
	.globl	__hip_cuid_296f4fd6a2faf298
__hip_cuid_296f4fd6a2faf298:
	.byte	0                               ; 0x0
	.size	__hip_cuid_296f4fd6a2faf298, 1

	.hidden	_Z42ncclDevFunc_Broadcast_RING_LL_Sum_i8_0_0_1v
	.hidden	_Z46ncclDevFunc_Broadcast_RING_SIMPLE_Sum_i8_0_0_1v
	.hidden	_Z43ncclDevFunc_Reduce_RING_SIMPLE_Sum_u8_0_0_1v
	.hidden	_Z44ncclDevFunc_Reduce_RING_SIMPLE_Sum_u32_0_0_1v
	.hidden	_Z44ncclDevFunc_Reduce_RING_SIMPLE_Sum_u64_0_0_1v
	.hidden	_Z44ncclDevFunc_Reduce_RING_SIMPLE_Sum_f16_0_0_1v
	.hidden	_Z44ncclDevFunc_Reduce_RING_SIMPLE_Sum_f32_0_0_1v
	.hidden	_Z44ncclDevFunc_Reduce_RING_SIMPLE_Sum_f64_0_0_1v
	.hidden	_Z45ncclDevFunc_Reduce_RING_SIMPLE_Sum_bf16_0_0_1v
	.hidden	_Z45ncclDevFunc_Reduce_RING_SIMPLE_Sum_bf16_0_1_1v
	.hidden	_Z47ncclDevFunc_Reduce_RING_SIMPLE_Sum_f8e4m3_0_0_1v
	.hidden	_Z47ncclDevFunc_Reduce_RING_SIMPLE_Sum_f8e5m2_0_0_1v
	.hidden	_Z44ncclDevFunc_Reduce_RING_SIMPLE_Prod_u8_0_0_1v
	.hidden	_Z45ncclDevFunc_Reduce_RING_SIMPLE_Prod_u32_0_0_1v
	.hidden	_Z45ncclDevFunc_Reduce_RING_SIMPLE_Prod_u64_0_0_1v
	.hidden	_Z45ncclDevFunc_Reduce_RING_SIMPLE_Prod_f16_0_0_1v
	.hidden	_Z45ncclDevFunc_Reduce_RING_SIMPLE_Prod_f32_0_0_1v
	.hidden	_Z45ncclDevFunc_Reduce_RING_SIMPLE_Prod_f64_0_0_1v
	.hidden	_Z46ncclDevFunc_Reduce_RING_SIMPLE_Prod_bf16_0_0_1v
	.hidden	_Z46ncclDevFunc_Reduce_RING_SIMPLE_Prod_bf16_0_1_1v
	.hidden	_Z48ncclDevFunc_Reduce_RING_SIMPLE_Prod_f8e4m3_0_0_1v
	.hidden	_Z48ncclDevFunc_Reduce_RING_SIMPLE_Prod_f8e5m2_0_0_1v
	.hidden	_Z46ncclDevFunc_Reduce_RING_SIMPLE_MinMax_u8_0_0_1v
	.hidden	_Z47ncclDevFunc_Reduce_RING_SIMPLE_MinMax_u32_0_0_1v
	.hidden	_Z47ncclDevFunc_Reduce_RING_SIMPLE_MinMax_u64_0_0_1v
	.hidden	_Z47ncclDevFunc_Reduce_RING_SIMPLE_MinMax_f16_0_0_1v
	.hidden	_Z47ncclDevFunc_Reduce_RING_SIMPLE_MinMax_f32_0_0_1v
	.hidden	_Z47ncclDevFunc_Reduce_RING_SIMPLE_MinMax_f64_0_0_1v
	.hidden	_Z48ncclDevFunc_Reduce_RING_SIMPLE_MinMax_bf16_0_0_1v
	.hidden	_Z48ncclDevFunc_Reduce_RING_SIMPLE_MinMax_bf16_0_1_1v
	.hidden	_Z50ncclDevFunc_Reduce_RING_SIMPLE_MinMax_f8e4m3_0_0_1v
	.hidden	_Z50ncclDevFunc_Reduce_RING_SIMPLE_MinMax_f8e5m2_0_0_1v
	.hidden	_Z49ncclDevFunc_Reduce_RING_SIMPLE_PreMulSum_u8_0_0_1v
	.hidden	_Z50ncclDevFunc_Reduce_RING_SIMPLE_PreMulSum_u32_0_0_1v
	.hidden	_Z50ncclDevFunc_Reduce_RING_SIMPLE_PreMulSum_u64_0_0_1v
	.hidden	_Z50ncclDevFunc_Reduce_RING_SIMPLE_PreMulSum_f16_0_0_1v
	.hidden	_Z50ncclDevFunc_Reduce_RING_SIMPLE_PreMulSum_f32_0_0_1v
	.hidden	_Z50ncclDevFunc_Reduce_RING_SIMPLE_PreMulSum_f64_0_0_1v
	.hidden	_Z51ncclDevFunc_Reduce_RING_SIMPLE_PreMulSum_bf16_0_0_1v
	.hidden	_Z51ncclDevFunc_Reduce_RING_SIMPLE_PreMulSum_bf16_0_1_1v
	.hidden	_Z53ncclDevFunc_Reduce_RING_SIMPLE_PreMulSum_f8e4m3_0_0_1v
	.hidden	_Z53ncclDevFunc_Reduce_RING_SIMPLE_PreMulSum_f8e5m2_0_0_1v
	.hidden	_Z50ncclDevFunc_Reduce_RING_SIMPLE_SumPostDiv_u8_0_0_1v
	.hidden	_Z51ncclDevFunc_Reduce_RING_SIMPLE_SumPostDiv_u32_0_0_1v
	.hidden	_Z51ncclDevFunc_Reduce_RING_SIMPLE_SumPostDiv_u64_0_0_1v
	.hidden	_Z42ncclDevFunc_AllGather_RING_LL_Sum_i8_0_0_1v
	.hidden	_Z46ncclDevFunc_AllGather_RING_SIMPLE_Sum_i8_0_0_1v
	.hidden	_Z41ncclDevFunc_AllGather_PAT_LL_Sum_i8_0_0_1v
	.hidden	_Z45ncclDevFunc_AllGather_PAT_SIMPLE_Sum_i8_0_0_1v
	.hidden	_Z46ncclDevFunc_ReduceScatter_RING_LL_Sum_u8_0_0_1v
	.hidden	_Z47ncclDevFunc_ReduceScatter_RING_LL_Sum_u32_0_0_1v
	.hidden	_Z47ncclDevFunc_ReduceScatter_RING_LL_Sum_u64_0_0_1v
	.hidden	_Z47ncclDevFunc_ReduceScatter_RING_LL_Sum_f16_0_0_1v
	.hidden	_Z47ncclDevFunc_ReduceScatter_RING_LL_Sum_f32_0_0_1v
	.hidden	_Z47ncclDevFunc_ReduceScatter_RING_LL_Sum_f64_0_0_1v
	.hidden	_Z48ncclDevFunc_ReduceScatter_RING_LL_Sum_bf16_0_0_1v
	.hidden	_Z50ncclDevFunc_ReduceScatter_RING_LL_Sum_f8e4m3_0_0_1v
	.hidden	_Z50ncclDevFunc_ReduceScatter_RING_LL_Sum_f8e5m2_0_0_1v
	.hidden	_Z47ncclDevFunc_ReduceScatter_RING_LL_Prod_u8_0_0_1v
	.hidden	_Z48ncclDevFunc_ReduceScatter_RING_LL_Prod_u32_0_0_1v
	.hidden	_Z48ncclDevFunc_ReduceScatter_RING_LL_Prod_u64_0_0_1v
	.hidden	_Z48ncclDevFunc_ReduceScatter_RING_LL_Prod_f16_0_0_1v
	.hidden	_Z48ncclDevFunc_ReduceScatter_RING_LL_Prod_f32_0_0_1v
	.hidden	_Z48ncclDevFunc_ReduceScatter_RING_LL_Prod_f64_0_0_1v
	.hidden	_Z49ncclDevFunc_ReduceScatter_RING_LL_Prod_bf16_0_0_1v
	.hidden	_Z51ncclDevFunc_ReduceScatter_RING_LL_Prod_f8e4m3_0_0_1v
	.hidden	_Z51ncclDevFunc_ReduceScatter_RING_LL_Prod_f8e5m2_0_0_1v
	.hidden	_Z49ncclDevFunc_ReduceScatter_RING_LL_MinMax_u8_0_0_1v
	.hidden	_Z50ncclDevFunc_ReduceScatter_RING_LL_MinMax_u32_0_0_1v
	.hidden	_Z50ncclDevFunc_ReduceScatter_RING_LL_MinMax_u64_0_0_1v
	.hidden	_Z50ncclDevFunc_ReduceScatter_RING_LL_MinMax_f16_0_0_1v
	.hidden	_Z50ncclDevFunc_ReduceScatter_RING_LL_MinMax_f32_0_0_1v
	.hidden	_Z50ncclDevFunc_ReduceScatter_RING_LL_MinMax_f64_0_0_1v
	.hidden	_Z51ncclDevFunc_ReduceScatter_RING_LL_MinMax_bf16_0_0_1v
	.hidden	_Z53ncclDevFunc_ReduceScatter_RING_LL_MinMax_f8e4m3_0_0_1v
	.hidden	_Z53ncclDevFunc_ReduceScatter_RING_LL_MinMax_f8e5m2_0_0_1v
	.hidden	_Z52ncclDevFunc_ReduceScatter_RING_LL_PreMulSum_u8_0_0_1v
	.hidden	_Z53ncclDevFunc_ReduceScatter_RING_LL_PreMulSum_u32_0_0_1v
	.hidden	_Z53ncclDevFunc_ReduceScatter_RING_LL_PreMulSum_u64_0_0_1v
	.hidden	_Z53ncclDevFunc_ReduceScatter_RING_LL_PreMulSum_f16_0_0_1v
	.hidden	_Z53ncclDevFunc_ReduceScatter_RING_LL_PreMulSum_f32_0_0_1v
	.hidden	_Z53ncclDevFunc_ReduceScatter_RING_LL_PreMulSum_f64_0_0_1v
	.hidden	_Z54ncclDevFunc_ReduceScatter_RING_LL_PreMulSum_bf16_0_0_1v
	.hidden	_Z56ncclDevFunc_ReduceScatter_RING_LL_PreMulSum_f8e4m3_0_0_1v
	.hidden	_Z56ncclDevFunc_ReduceScatter_RING_LL_PreMulSum_f8e5m2_0_0_1v
	.hidden	_Z53ncclDevFunc_ReduceScatter_RING_LL_SumPostDiv_u8_0_0_1v
	.hidden	_Z54ncclDevFunc_ReduceScatter_RING_LL_SumPostDiv_u32_0_0_1v
	.hidden	_Z54ncclDevFunc_ReduceScatter_RING_LL_SumPostDiv_u64_0_0_1v
	.hidden	_Z46ncclDevFunc_AllReduce_RING_SIMPLE_Sum_u8_0_0_1v
	.hidden	_Z47ncclDevFunc_AllReduce_RING_SIMPLE_Sum_u32_0_0_1v
	.hidden	_Z47ncclDevFunc_AllReduce_RING_SIMPLE_Sum_u64_0_0_1v
	.hidden	_Z47ncclDevFunc_AllReduce_RING_SIMPLE_Sum_f16_0_0_1v
	.hidden	_Z47ncclDevFunc_AllReduce_RING_SIMPLE_Sum_f32_0_0_1v
	.hidden	_Z47ncclDevFunc_AllReduce_RING_SIMPLE_Sum_f64_0_0_1v
	.hidden	_Z48ncclDevFunc_AllReduce_RING_SIMPLE_Sum_bf16_0_0_1v
	.hidden	_Z48ncclDevFunc_AllReduce_RING_SIMPLE_Sum_bf16_0_1_1v
	.hidden	_Z50ncclDevFunc_AllReduce_RING_SIMPLE_Sum_f8e4m3_0_0_1v
	.hidden	_Z50ncclDevFunc_AllReduce_RING_SIMPLE_Sum_f8e5m2_0_0_1v
	.hidden	_Z47ncclDevFunc_AllReduce_RING_SIMPLE_Prod_u8_0_0_1v
	.hidden	_Z48ncclDevFunc_AllReduce_RING_SIMPLE_Prod_u32_0_0_1v
	.hidden	_Z48ncclDevFunc_AllReduce_RING_SIMPLE_Prod_u64_0_0_1v
	.hidden	_Z48ncclDevFunc_AllReduce_RING_SIMPLE_Prod_f16_0_0_1v
	.hidden	_Z48ncclDevFunc_AllReduce_RING_SIMPLE_Prod_f32_0_0_1v
	.hidden	_Z48ncclDevFunc_AllReduce_RING_SIMPLE_Prod_f64_0_0_1v
	.hidden	_Z49ncclDevFunc_AllReduce_RING_SIMPLE_Prod_bf16_0_0_1v
	.hidden	_Z49ncclDevFunc_AllReduce_RING_SIMPLE_Prod_bf16_0_1_1v
	.hidden	_Z51ncclDevFunc_AllReduce_RING_SIMPLE_Prod_f8e4m3_0_0_1v
	.hidden	_Z51ncclDevFunc_AllReduce_RING_SIMPLE_Prod_f8e5m2_0_0_1v
	.hidden	_Z49ncclDevFunc_AllReduce_RING_SIMPLE_MinMax_u8_0_0_1v
	.hidden	_Z50ncclDevFunc_AllReduce_RING_SIMPLE_MinMax_u32_0_0_1v
	.hidden	_Z50ncclDevFunc_AllReduce_RING_SIMPLE_MinMax_u64_0_0_1v
	.hidden	_Z50ncclDevFunc_AllReduce_RING_SIMPLE_MinMax_f16_0_0_1v
	.hidden	_Z50ncclDevFunc_AllReduce_RING_SIMPLE_MinMax_f32_0_0_1v
	.hidden	_Z50ncclDevFunc_AllReduce_RING_SIMPLE_MinMax_f64_0_0_1v
	.hidden	_Z51ncclDevFunc_AllReduce_RING_SIMPLE_MinMax_bf16_0_0_1v
	.hidden	_Z51ncclDevFunc_AllReduce_RING_SIMPLE_MinMax_bf16_0_1_1v
	.hidden	_Z53ncclDevFunc_AllReduce_RING_SIMPLE_MinMax_f8e4m3_0_0_1v
	.hidden	_Z53ncclDevFunc_AllReduce_RING_SIMPLE_MinMax_f8e5m2_0_0_1v
	.hidden	_Z52ncclDevFunc_AllReduce_RING_SIMPLE_PreMulSum_u8_0_0_1v
	.hidden	_Z53ncclDevFunc_AllReduce_RING_SIMPLE_PreMulSum_u32_0_0_1v
	.hidden	_Z53ncclDevFunc_AllReduce_RING_SIMPLE_PreMulSum_u64_0_0_1v
	.hidden	_Z53ncclDevFunc_AllReduce_RING_SIMPLE_PreMulSum_f16_0_0_1v
	.hidden	_Z53ncclDevFunc_AllReduce_RING_SIMPLE_PreMulSum_f32_0_0_1v
	.hidden	_Z53ncclDevFunc_AllReduce_RING_SIMPLE_PreMulSum_f64_0_0_1v
	.hidden	_Z54ncclDevFunc_AllReduce_RING_SIMPLE_PreMulSum_bf16_0_0_1v
	.hidden	_Z54ncclDevFunc_AllReduce_RING_SIMPLE_PreMulSum_bf16_0_1_1v
	.hidden	_Z56ncclDevFunc_AllReduce_RING_SIMPLE_PreMulSum_f8e4m3_0_0_1v
	.hidden	_Z56ncclDevFunc_AllReduce_RING_SIMPLE_PreMulSum_f8e5m2_0_0_1v
	.hidden	_Z53ncclDevFunc_AllReduce_RING_SIMPLE_SumPostDiv_u8_0_0_1v
	.hidden	_Z54ncclDevFunc_AllReduce_RING_SIMPLE_SumPostDiv_u32_0_0_1v
	.hidden	_Z54ncclDevFunc_AllReduce_RING_SIMPLE_SumPostDiv_u64_0_0_1v
	.hidden	_Z45ncclDevFunc_SendRecv_RING_SIMPLE_Sum_i8_0_0_1v
	.hidden	_Z50ncclDevFunc_AlltoAllPivot_RING_SIMPLE_Sum_i8_0_0_1v
	.hidden	_Z42ncclDevFunc_Broadcast_RING_LL_Sum_i8_0_0_2v
	.hidden	_Z46ncclDevFunc_Broadcast_RING_SIMPLE_Sum_i8_0_0_2v
	.hidden	_Z43ncclDevFunc_Reduce_RING_SIMPLE_Sum_u8_0_0_2v
	.hidden	_Z44ncclDevFunc_Reduce_RING_SIMPLE_Sum_u32_0_0_2v
	.hidden	_Z44ncclDevFunc_Reduce_RING_SIMPLE_Sum_u64_0_0_2v
	.hidden	_Z44ncclDevFunc_Reduce_RING_SIMPLE_Sum_f16_0_0_2v
	.hidden	_Z44ncclDevFunc_Reduce_RING_SIMPLE_Sum_f32_0_0_2v
	.hidden	_Z44ncclDevFunc_Reduce_RING_SIMPLE_Sum_f64_0_0_2v
	.hidden	_Z45ncclDevFunc_Reduce_RING_SIMPLE_Sum_bf16_0_0_2v
	.hidden	_Z45ncclDevFunc_Reduce_RING_SIMPLE_Sum_bf16_0_1_2v
	.hidden	_Z47ncclDevFunc_Reduce_RING_SIMPLE_Sum_f8e4m3_0_0_2v
	.hidden	_Z47ncclDevFunc_Reduce_RING_SIMPLE_Sum_f8e5m2_0_0_2v
	.hidden	_Z44ncclDevFunc_Reduce_RING_SIMPLE_Prod_u8_0_0_2v
	.hidden	_Z45ncclDevFunc_Reduce_RING_SIMPLE_Prod_u32_0_0_2v
	.hidden	_Z45ncclDevFunc_Reduce_RING_SIMPLE_Prod_u64_0_0_2v
	.hidden	_Z45ncclDevFunc_Reduce_RING_SIMPLE_Prod_f16_0_0_2v
	.hidden	_Z45ncclDevFunc_Reduce_RING_SIMPLE_Prod_f32_0_0_2v
	.hidden	_Z45ncclDevFunc_Reduce_RING_SIMPLE_Prod_f64_0_0_2v
	.hidden	_Z46ncclDevFunc_Reduce_RING_SIMPLE_Prod_bf16_0_0_2v
	.hidden	_Z46ncclDevFunc_Reduce_RING_SIMPLE_Prod_bf16_0_1_2v
	.hidden	_Z48ncclDevFunc_Reduce_RING_SIMPLE_Prod_f8e4m3_0_0_2v
	.hidden	_Z48ncclDevFunc_Reduce_RING_SIMPLE_Prod_f8e5m2_0_0_2v
	.hidden	_Z46ncclDevFunc_Reduce_RING_SIMPLE_MinMax_u8_0_0_2v
	.hidden	_Z47ncclDevFunc_Reduce_RING_SIMPLE_MinMax_u32_0_0_2v
	.hidden	_Z47ncclDevFunc_Reduce_RING_SIMPLE_MinMax_u64_0_0_2v
	.hidden	_Z47ncclDevFunc_Reduce_RING_SIMPLE_MinMax_f16_0_0_2v
	.hidden	_Z47ncclDevFunc_Reduce_RING_SIMPLE_MinMax_f32_0_0_2v
	.hidden	_Z47ncclDevFunc_Reduce_RING_SIMPLE_MinMax_f64_0_0_2v
	.hidden	_Z48ncclDevFunc_Reduce_RING_SIMPLE_MinMax_bf16_0_0_2v
	.hidden	_Z48ncclDevFunc_Reduce_RING_SIMPLE_MinMax_bf16_0_1_2v
	.hidden	_Z50ncclDevFunc_Reduce_RING_SIMPLE_MinMax_f8e4m3_0_0_2v
	.hidden	_Z50ncclDevFunc_Reduce_RING_SIMPLE_MinMax_f8e5m2_0_0_2v
	.hidden	_Z49ncclDevFunc_Reduce_RING_SIMPLE_PreMulSum_u8_0_0_2v
	.hidden	_Z50ncclDevFunc_Reduce_RING_SIMPLE_PreMulSum_u32_0_0_2v
	.hidden	_Z50ncclDevFunc_Reduce_RING_SIMPLE_PreMulSum_u64_0_0_2v
	.hidden	_Z50ncclDevFunc_Reduce_RING_SIMPLE_PreMulSum_f16_0_0_2v
	.hidden	_Z50ncclDevFunc_Reduce_RING_SIMPLE_PreMulSum_f32_0_0_2v
	.hidden	_Z50ncclDevFunc_Reduce_RING_SIMPLE_PreMulSum_f64_0_0_2v
	.hidden	_Z51ncclDevFunc_Reduce_RING_SIMPLE_PreMulSum_bf16_0_0_2v
	.hidden	_Z51ncclDevFunc_Reduce_RING_SIMPLE_PreMulSum_bf16_0_1_2v
	.hidden	_Z53ncclDevFunc_Reduce_RING_SIMPLE_PreMulSum_f8e4m3_0_0_2v
	.hidden	_Z53ncclDevFunc_Reduce_RING_SIMPLE_PreMulSum_f8e5m2_0_0_2v
	.hidden	_Z50ncclDevFunc_Reduce_RING_SIMPLE_SumPostDiv_u8_0_0_2v
	.hidden	_Z51ncclDevFunc_Reduce_RING_SIMPLE_SumPostDiv_u32_0_0_2v
	.hidden	_Z51ncclDevFunc_Reduce_RING_SIMPLE_SumPostDiv_u64_0_0_2v
	.hidden	_Z42ncclDevFunc_AllGather_RING_LL_Sum_i8_0_0_2v
	.hidden	_Z46ncclDevFunc_AllGather_RING_SIMPLE_Sum_i8_0_0_2v
	.hidden	_Z41ncclDevFunc_AllGather_PAT_LL_Sum_i8_0_0_2v
	.hidden	_Z45ncclDevFunc_AllGather_PAT_SIMPLE_Sum_i8_0_0_2v
	.hidden	_Z46ncclDevFunc_ReduceScatter_RING_LL_Sum_u8_0_0_2v
	.hidden	_Z47ncclDevFunc_ReduceScatter_RING_LL_Sum_u32_0_0_2v
	.hidden	_Z47ncclDevFunc_ReduceScatter_RING_LL_Sum_u64_0_0_2v
	.hidden	_Z47ncclDevFunc_ReduceScatter_RING_LL_Sum_f16_0_0_2v
	.hidden	_Z47ncclDevFunc_ReduceScatter_RING_LL_Sum_f32_0_0_2v
	.hidden	_Z47ncclDevFunc_ReduceScatter_RING_LL_Sum_f64_0_0_2v
	.hidden	_Z48ncclDevFunc_ReduceScatter_RING_LL_Sum_bf16_0_0_2v
	.hidden	_Z50ncclDevFunc_ReduceScatter_RING_LL_Sum_f8e4m3_0_0_2v
	.hidden	_Z50ncclDevFunc_ReduceScatter_RING_LL_Sum_f8e5m2_0_0_2v
	.hidden	_Z47ncclDevFunc_ReduceScatter_RING_LL_Prod_u8_0_0_2v
	.hidden	_Z48ncclDevFunc_ReduceScatter_RING_LL_Prod_u32_0_0_2v
	.hidden	_Z48ncclDevFunc_ReduceScatter_RING_LL_Prod_u64_0_0_2v
	.hidden	_Z48ncclDevFunc_ReduceScatter_RING_LL_Prod_f16_0_0_2v
	.hidden	_Z48ncclDevFunc_ReduceScatter_RING_LL_Prod_f32_0_0_2v
	.hidden	_Z48ncclDevFunc_ReduceScatter_RING_LL_Prod_f64_0_0_2v
	.hidden	_Z49ncclDevFunc_ReduceScatter_RING_LL_Prod_bf16_0_0_2v
	.hidden	_Z51ncclDevFunc_ReduceScatter_RING_LL_Prod_f8e4m3_0_0_2v
	.hidden	_Z51ncclDevFunc_ReduceScatter_RING_LL_Prod_f8e5m2_0_0_2v
	.hidden	_Z49ncclDevFunc_ReduceScatter_RING_LL_MinMax_u8_0_0_2v
	.hidden	_Z50ncclDevFunc_ReduceScatter_RING_LL_MinMax_u32_0_0_2v
	.hidden	_Z50ncclDevFunc_ReduceScatter_RING_LL_MinMax_u64_0_0_2v
	.hidden	_Z50ncclDevFunc_ReduceScatter_RING_LL_MinMax_f16_0_0_2v
	.hidden	_Z50ncclDevFunc_ReduceScatter_RING_LL_MinMax_f32_0_0_2v
	.hidden	_Z50ncclDevFunc_ReduceScatter_RING_LL_MinMax_f64_0_0_2v
	.hidden	_Z51ncclDevFunc_ReduceScatter_RING_LL_MinMax_bf16_0_0_2v
	.hidden	_Z53ncclDevFunc_ReduceScatter_RING_LL_MinMax_f8e4m3_0_0_2v
	.hidden	_Z53ncclDevFunc_ReduceScatter_RING_LL_MinMax_f8e5m2_0_0_2v
	.hidden	_Z52ncclDevFunc_ReduceScatter_RING_LL_PreMulSum_u8_0_0_2v
	.hidden	_Z53ncclDevFunc_ReduceScatter_RING_LL_PreMulSum_u32_0_0_2v
	.hidden	_Z53ncclDevFunc_ReduceScatter_RING_LL_PreMulSum_u64_0_0_2v
	.hidden	_Z53ncclDevFunc_ReduceScatter_RING_LL_PreMulSum_f16_0_0_2v
	.hidden	_Z53ncclDevFunc_ReduceScatter_RING_LL_PreMulSum_f32_0_0_2v
	.hidden	_Z53ncclDevFunc_ReduceScatter_RING_LL_PreMulSum_f64_0_0_2v
	.hidden	_Z54ncclDevFunc_ReduceScatter_RING_LL_PreMulSum_bf16_0_0_2v
	.hidden	_Z56ncclDevFunc_ReduceScatter_RING_LL_PreMulSum_f8e4m3_0_0_2v
	.hidden	_Z56ncclDevFunc_ReduceScatter_RING_LL_PreMulSum_f8e5m2_0_0_2v
	.hidden	_Z53ncclDevFunc_ReduceScatter_RING_LL_SumPostDiv_u8_0_0_2v
	.hidden	_Z54ncclDevFunc_ReduceScatter_RING_LL_SumPostDiv_u32_0_0_2v
	.hidden	_Z54ncclDevFunc_ReduceScatter_RING_LL_SumPostDiv_u64_0_0_2v
	.hidden	_Z46ncclDevFunc_AllReduce_RING_SIMPLE_Sum_u8_0_0_2v
	.hidden	_Z47ncclDevFunc_AllReduce_RING_SIMPLE_Sum_u32_0_0_2v
	.hidden	_Z47ncclDevFunc_AllReduce_RING_SIMPLE_Sum_u64_0_0_2v
	.hidden	_Z47ncclDevFunc_AllReduce_RING_SIMPLE_Sum_f16_0_0_2v
	.hidden	_Z47ncclDevFunc_AllReduce_RING_SIMPLE_Sum_f32_0_0_2v
	.hidden	_Z47ncclDevFunc_AllReduce_RING_SIMPLE_Sum_f64_0_0_2v
	.hidden	_Z48ncclDevFunc_AllReduce_RING_SIMPLE_Sum_bf16_0_0_2v
	.hidden	_Z48ncclDevFunc_AllReduce_RING_SIMPLE_Sum_bf16_0_1_2v
	.hidden	_Z50ncclDevFunc_AllReduce_RING_SIMPLE_Sum_f8e4m3_0_0_2v
	.hidden	_Z50ncclDevFunc_AllReduce_RING_SIMPLE_Sum_f8e5m2_0_0_2v
	.hidden	_Z47ncclDevFunc_AllReduce_RING_SIMPLE_Prod_u8_0_0_2v
	.hidden	_Z48ncclDevFunc_AllReduce_RING_SIMPLE_Prod_u32_0_0_2v
	.hidden	_Z48ncclDevFunc_AllReduce_RING_SIMPLE_Prod_u64_0_0_2v
	.hidden	_Z48ncclDevFunc_AllReduce_RING_SIMPLE_Prod_f16_0_0_2v
	.hidden	_Z48ncclDevFunc_AllReduce_RING_SIMPLE_Prod_f32_0_0_2v
	.hidden	_Z48ncclDevFunc_AllReduce_RING_SIMPLE_Prod_f64_0_0_2v
	.hidden	_Z49ncclDevFunc_AllReduce_RING_SIMPLE_Prod_bf16_0_0_2v
	.hidden	_Z49ncclDevFunc_AllReduce_RING_SIMPLE_Prod_bf16_0_1_2v
	.hidden	_Z51ncclDevFunc_AllReduce_RING_SIMPLE_Prod_f8e4m3_0_0_2v
	.hidden	_Z51ncclDevFunc_AllReduce_RING_SIMPLE_Prod_f8e5m2_0_0_2v
	.hidden	_Z49ncclDevFunc_AllReduce_RING_SIMPLE_MinMax_u8_0_0_2v
	.hidden	_Z50ncclDevFunc_AllReduce_RING_SIMPLE_MinMax_u32_0_0_2v
	.hidden	_Z50ncclDevFunc_AllReduce_RING_SIMPLE_MinMax_u64_0_0_2v
	.hidden	_Z50ncclDevFunc_AllReduce_RING_SIMPLE_MinMax_f16_0_0_2v
	.hidden	_Z50ncclDevFunc_AllReduce_RING_SIMPLE_MinMax_f32_0_0_2v
	.hidden	_Z50ncclDevFunc_AllReduce_RING_SIMPLE_MinMax_f64_0_0_2v
	.hidden	_Z51ncclDevFunc_AllReduce_RING_SIMPLE_MinMax_bf16_0_0_2v
	.hidden	_Z51ncclDevFunc_AllReduce_RING_SIMPLE_MinMax_bf16_0_1_2v
	.hidden	_Z53ncclDevFunc_AllReduce_RING_SIMPLE_MinMax_f8e4m3_0_0_2v
	.hidden	_Z53ncclDevFunc_AllReduce_RING_SIMPLE_MinMax_f8e5m2_0_0_2v
	.hidden	_Z52ncclDevFunc_AllReduce_RING_SIMPLE_PreMulSum_u8_0_0_2v
	.hidden	_Z53ncclDevFunc_AllReduce_RING_SIMPLE_PreMulSum_u32_0_0_2v
	.hidden	_Z53ncclDevFunc_AllReduce_RING_SIMPLE_PreMulSum_u64_0_0_2v
	.hidden	_Z53ncclDevFunc_AllReduce_RING_SIMPLE_PreMulSum_f16_0_0_2v
	.hidden	_Z53ncclDevFunc_AllReduce_RING_SIMPLE_PreMulSum_f32_0_0_2v
	.hidden	_Z53ncclDevFunc_AllReduce_RING_SIMPLE_PreMulSum_f64_0_0_2v
	.hidden	_Z54ncclDevFunc_AllReduce_RING_SIMPLE_PreMulSum_bf16_0_0_2v
	.hidden	_Z54ncclDevFunc_AllReduce_RING_SIMPLE_PreMulSum_bf16_0_1_2v
	.hidden	_Z56ncclDevFunc_AllReduce_RING_SIMPLE_PreMulSum_f8e4m3_0_0_2v
	.hidden	_Z56ncclDevFunc_AllReduce_RING_SIMPLE_PreMulSum_f8e5m2_0_0_2v
	.hidden	_Z53ncclDevFunc_AllReduce_RING_SIMPLE_SumPostDiv_u8_0_0_2v
	.hidden	_Z54ncclDevFunc_AllReduce_RING_SIMPLE_SumPostDiv_u32_0_0_2v
	.hidden	_Z54ncclDevFunc_AllReduce_RING_SIMPLE_SumPostDiv_u64_0_0_2v
	.hidden	_Z45ncclDevFunc_SendRecv_RING_SIMPLE_Sum_i8_0_0_2v
	.hidden	_Z50ncclDevFunc_AlltoAllPivot_RING_SIMPLE_Sum_i8_0_0_2v
	.hidden	_Z42ncclDevFunc_Broadcast_RING_LL_Sum_i8_0_0_4v
	.hidden	_Z46ncclDevFunc_Broadcast_RING_SIMPLE_Sum_i8_0_0_4v
	.hidden	_Z43ncclDevFunc_Reduce_RING_SIMPLE_Sum_u8_0_0_4v
	.hidden	_Z44ncclDevFunc_Reduce_RING_SIMPLE_Sum_u32_0_0_4v
	.hidden	_Z44ncclDevFunc_Reduce_RING_SIMPLE_Sum_u64_0_0_4v
	.hidden	_Z44ncclDevFunc_Reduce_RING_SIMPLE_Sum_f16_0_0_4v
	.hidden	_Z44ncclDevFunc_Reduce_RING_SIMPLE_Sum_f32_0_0_4v
	.hidden	_Z44ncclDevFunc_Reduce_RING_SIMPLE_Sum_f64_0_0_4v
	.hidden	_Z45ncclDevFunc_Reduce_RING_SIMPLE_Sum_bf16_0_0_4v
	.hidden	_Z45ncclDevFunc_Reduce_RING_SIMPLE_Sum_bf16_0_1_4v
	.hidden	_Z47ncclDevFunc_Reduce_RING_SIMPLE_Sum_f8e4m3_0_0_4v
	.hidden	_Z47ncclDevFunc_Reduce_RING_SIMPLE_Sum_f8e5m2_0_0_4v
	.hidden	_Z44ncclDevFunc_Reduce_RING_SIMPLE_Prod_u8_0_0_4v
	.hidden	_Z45ncclDevFunc_Reduce_RING_SIMPLE_Prod_u32_0_0_4v
	.hidden	_Z45ncclDevFunc_Reduce_RING_SIMPLE_Prod_u64_0_0_4v
	.hidden	_Z45ncclDevFunc_Reduce_RING_SIMPLE_Prod_f16_0_0_4v
	.hidden	_Z45ncclDevFunc_Reduce_RING_SIMPLE_Prod_f32_0_0_4v
	.hidden	_Z45ncclDevFunc_Reduce_RING_SIMPLE_Prod_f64_0_0_4v
	.hidden	_Z46ncclDevFunc_Reduce_RING_SIMPLE_Prod_bf16_0_0_4v
	.hidden	_Z46ncclDevFunc_Reduce_RING_SIMPLE_Prod_bf16_0_1_4v
	.hidden	_Z48ncclDevFunc_Reduce_RING_SIMPLE_Prod_f8e4m3_0_0_4v
	.hidden	_Z48ncclDevFunc_Reduce_RING_SIMPLE_Prod_f8e5m2_0_0_4v
	.hidden	_Z46ncclDevFunc_Reduce_RING_SIMPLE_MinMax_u8_0_0_4v
	.hidden	_Z47ncclDevFunc_Reduce_RING_SIMPLE_MinMax_u32_0_0_4v
	.hidden	_Z47ncclDevFunc_Reduce_RING_SIMPLE_MinMax_u64_0_0_4v
	.hidden	_Z47ncclDevFunc_Reduce_RING_SIMPLE_MinMax_f16_0_0_4v
	.hidden	_Z47ncclDevFunc_Reduce_RING_SIMPLE_MinMax_f32_0_0_4v
	.hidden	_Z47ncclDevFunc_Reduce_RING_SIMPLE_MinMax_f64_0_0_4v
	.hidden	_Z48ncclDevFunc_Reduce_RING_SIMPLE_MinMax_bf16_0_0_4v
	.hidden	_Z48ncclDevFunc_Reduce_RING_SIMPLE_MinMax_bf16_0_1_4v
	.hidden	_Z50ncclDevFunc_Reduce_RING_SIMPLE_MinMax_f8e4m3_0_0_4v
	.hidden	_Z50ncclDevFunc_Reduce_RING_SIMPLE_MinMax_f8e5m2_0_0_4v
	.hidden	_Z49ncclDevFunc_Reduce_RING_SIMPLE_PreMulSum_u8_0_0_4v
	.hidden	_Z50ncclDevFunc_Reduce_RING_SIMPLE_PreMulSum_u32_0_0_4v
	.hidden	_Z50ncclDevFunc_Reduce_RING_SIMPLE_PreMulSum_u64_0_0_4v
	.hidden	_Z50ncclDevFunc_Reduce_RING_SIMPLE_PreMulSum_f16_0_0_4v
	.hidden	_Z50ncclDevFunc_Reduce_RING_SIMPLE_PreMulSum_f32_0_0_4v
	.hidden	_Z50ncclDevFunc_Reduce_RING_SIMPLE_PreMulSum_f64_0_0_4v
	.hidden	_Z51ncclDevFunc_Reduce_RING_SIMPLE_PreMulSum_bf16_0_0_4v
	.hidden	_Z51ncclDevFunc_Reduce_RING_SIMPLE_PreMulSum_bf16_0_1_4v
	.hidden	_Z53ncclDevFunc_Reduce_RING_SIMPLE_PreMulSum_f8e4m3_0_0_4v
	.hidden	_Z53ncclDevFunc_Reduce_RING_SIMPLE_PreMulSum_f8e5m2_0_0_4v
	.hidden	_Z50ncclDevFunc_Reduce_RING_SIMPLE_SumPostDiv_u8_0_0_4v
	.hidden	_Z51ncclDevFunc_Reduce_RING_SIMPLE_SumPostDiv_u32_0_0_4v
	.hidden	_Z51ncclDevFunc_Reduce_RING_SIMPLE_SumPostDiv_u64_0_0_4v
	.hidden	_Z42ncclDevFunc_AllGather_RING_LL_Sum_i8_0_0_4v
	.hidden	_Z46ncclDevFunc_AllGather_RING_SIMPLE_Sum_i8_0_0_4v
	.hidden	_Z41ncclDevFunc_AllGather_PAT_LL_Sum_i8_0_0_4v
	.hidden	_Z45ncclDevFunc_AllGather_PAT_SIMPLE_Sum_i8_0_0_4v
	.hidden	_Z46ncclDevFunc_ReduceScatter_RING_LL_Sum_u8_0_0_4v
	.hidden	_Z47ncclDevFunc_ReduceScatter_RING_LL_Sum_u32_0_0_4v
	.hidden	_Z47ncclDevFunc_ReduceScatter_RING_LL_Sum_u64_0_0_4v
	.hidden	_Z47ncclDevFunc_ReduceScatter_RING_LL_Sum_f16_0_0_4v
	.hidden	_Z47ncclDevFunc_ReduceScatter_RING_LL_Sum_f32_0_0_4v
	.hidden	_Z47ncclDevFunc_ReduceScatter_RING_LL_Sum_f64_0_0_4v
	.hidden	_Z48ncclDevFunc_ReduceScatter_RING_LL_Sum_bf16_0_0_4v
	.hidden	_Z50ncclDevFunc_ReduceScatter_RING_LL_Sum_f8e4m3_0_0_4v
	.hidden	_Z50ncclDevFunc_ReduceScatter_RING_LL_Sum_f8e5m2_0_0_4v
	.hidden	_Z47ncclDevFunc_ReduceScatter_RING_LL_Prod_u8_0_0_4v
	.hidden	_Z48ncclDevFunc_ReduceScatter_RING_LL_Prod_u32_0_0_4v
	.hidden	_Z48ncclDevFunc_ReduceScatter_RING_LL_Prod_u64_0_0_4v
	.hidden	_Z48ncclDevFunc_ReduceScatter_RING_LL_Prod_f16_0_0_4v
	.hidden	_Z48ncclDevFunc_ReduceScatter_RING_LL_Prod_f32_0_0_4v
	.hidden	_Z48ncclDevFunc_ReduceScatter_RING_LL_Prod_f64_0_0_4v
	.hidden	_Z49ncclDevFunc_ReduceScatter_RING_LL_Prod_bf16_0_0_4v
	.hidden	_Z51ncclDevFunc_ReduceScatter_RING_LL_Prod_f8e4m3_0_0_4v
	.hidden	_Z51ncclDevFunc_ReduceScatter_RING_LL_Prod_f8e5m2_0_0_4v
	.hidden	_Z49ncclDevFunc_ReduceScatter_RING_LL_MinMax_u8_0_0_4v
	.hidden	_Z50ncclDevFunc_ReduceScatter_RING_LL_MinMax_u32_0_0_4v
	.hidden	_Z50ncclDevFunc_ReduceScatter_RING_LL_MinMax_u64_0_0_4v
	.hidden	_Z50ncclDevFunc_ReduceScatter_RING_LL_MinMax_f16_0_0_4v
	.hidden	_Z50ncclDevFunc_ReduceScatter_RING_LL_MinMax_f32_0_0_4v
	.hidden	_Z50ncclDevFunc_ReduceScatter_RING_LL_MinMax_f64_0_0_4v
	.hidden	_Z51ncclDevFunc_ReduceScatter_RING_LL_MinMax_bf16_0_0_4v
	.hidden	_Z53ncclDevFunc_ReduceScatter_RING_LL_MinMax_f8e4m3_0_0_4v
	.hidden	_Z53ncclDevFunc_ReduceScatter_RING_LL_MinMax_f8e5m2_0_0_4v
	.hidden	_Z52ncclDevFunc_ReduceScatter_RING_LL_PreMulSum_u8_0_0_4v
	.hidden	_Z53ncclDevFunc_ReduceScatter_RING_LL_PreMulSum_u32_0_0_4v
	.hidden	_Z53ncclDevFunc_ReduceScatter_RING_LL_PreMulSum_u64_0_0_4v
	.hidden	_Z53ncclDevFunc_ReduceScatter_RING_LL_PreMulSum_f16_0_0_4v
	.hidden	_Z53ncclDevFunc_ReduceScatter_RING_LL_PreMulSum_f32_0_0_4v
	.hidden	_Z53ncclDevFunc_ReduceScatter_RING_LL_PreMulSum_f64_0_0_4v
	.hidden	_Z54ncclDevFunc_ReduceScatter_RING_LL_PreMulSum_bf16_0_0_4v
	.hidden	_Z56ncclDevFunc_ReduceScatter_RING_LL_PreMulSum_f8e4m3_0_0_4v
	.hidden	_Z56ncclDevFunc_ReduceScatter_RING_LL_PreMulSum_f8e5m2_0_0_4v
	.hidden	_Z53ncclDevFunc_ReduceScatter_RING_LL_SumPostDiv_u8_0_0_4v
	.hidden	_Z54ncclDevFunc_ReduceScatter_RING_LL_SumPostDiv_u32_0_0_4v
	.hidden	_Z54ncclDevFunc_ReduceScatter_RING_LL_SumPostDiv_u64_0_0_4v
	.hidden	_Z46ncclDevFunc_AllReduce_RING_SIMPLE_Sum_u8_0_0_4v
	.hidden	_Z47ncclDevFunc_AllReduce_RING_SIMPLE_Sum_u32_0_0_4v
	.hidden	_Z47ncclDevFunc_AllReduce_RING_SIMPLE_Sum_u64_0_0_4v
	.hidden	_Z47ncclDevFunc_AllReduce_RING_SIMPLE_Sum_f16_0_0_4v
	.hidden	_Z47ncclDevFunc_AllReduce_RING_SIMPLE_Sum_f32_0_0_4v
	.hidden	_Z47ncclDevFunc_AllReduce_RING_SIMPLE_Sum_f64_0_0_4v
	.hidden	_Z48ncclDevFunc_AllReduce_RING_SIMPLE_Sum_bf16_0_0_4v
	.hidden	_Z48ncclDevFunc_AllReduce_RING_SIMPLE_Sum_bf16_0_1_4v
	.hidden	_Z50ncclDevFunc_AllReduce_RING_SIMPLE_Sum_f8e4m3_0_0_4v
	.hidden	_Z50ncclDevFunc_AllReduce_RING_SIMPLE_Sum_f8e5m2_0_0_4v
	.hidden	_Z47ncclDevFunc_AllReduce_RING_SIMPLE_Prod_u8_0_0_4v
	.hidden	_Z48ncclDevFunc_AllReduce_RING_SIMPLE_Prod_u32_0_0_4v
	.hidden	_Z48ncclDevFunc_AllReduce_RING_SIMPLE_Prod_u64_0_0_4v
	.hidden	_Z48ncclDevFunc_AllReduce_RING_SIMPLE_Prod_f16_0_0_4v
	.hidden	_Z48ncclDevFunc_AllReduce_RING_SIMPLE_Prod_f32_0_0_4v
	.hidden	_Z48ncclDevFunc_AllReduce_RING_SIMPLE_Prod_f64_0_0_4v
	.hidden	_Z49ncclDevFunc_AllReduce_RING_SIMPLE_Prod_bf16_0_0_4v
	.hidden	_Z49ncclDevFunc_AllReduce_RING_SIMPLE_Prod_bf16_0_1_4v
	.hidden	_Z51ncclDevFunc_AllReduce_RING_SIMPLE_Prod_f8e4m3_0_0_4v
	.hidden	_Z51ncclDevFunc_AllReduce_RING_SIMPLE_Prod_f8e5m2_0_0_4v
	.hidden	_Z49ncclDevFunc_AllReduce_RING_SIMPLE_MinMax_u8_0_0_4v
	.hidden	_Z50ncclDevFunc_AllReduce_RING_SIMPLE_MinMax_u32_0_0_4v
	.hidden	_Z50ncclDevFunc_AllReduce_RING_SIMPLE_MinMax_u64_0_0_4v
	.hidden	_Z50ncclDevFunc_AllReduce_RING_SIMPLE_MinMax_f16_0_0_4v
	.hidden	_Z50ncclDevFunc_AllReduce_RING_SIMPLE_MinMax_f32_0_0_4v
	.hidden	_Z50ncclDevFunc_AllReduce_RING_SIMPLE_MinMax_f64_0_0_4v
	.hidden	_Z51ncclDevFunc_AllReduce_RING_SIMPLE_MinMax_bf16_0_0_4v
	.hidden	_Z51ncclDevFunc_AllReduce_RING_SIMPLE_MinMax_bf16_0_1_4v
	.hidden	_Z53ncclDevFunc_AllReduce_RING_SIMPLE_MinMax_f8e4m3_0_0_4v
	.hidden	_Z53ncclDevFunc_AllReduce_RING_SIMPLE_MinMax_f8e5m2_0_0_4v
	.hidden	_Z52ncclDevFunc_AllReduce_RING_SIMPLE_PreMulSum_u8_0_0_4v
	.hidden	_Z53ncclDevFunc_AllReduce_RING_SIMPLE_PreMulSum_u32_0_0_4v
	.hidden	_Z53ncclDevFunc_AllReduce_RING_SIMPLE_PreMulSum_u64_0_0_4v
	.hidden	_Z53ncclDevFunc_AllReduce_RING_SIMPLE_PreMulSum_f16_0_0_4v
	.hidden	_Z53ncclDevFunc_AllReduce_RING_SIMPLE_PreMulSum_f32_0_0_4v
	.hidden	_Z53ncclDevFunc_AllReduce_RING_SIMPLE_PreMulSum_f64_0_0_4v
	.hidden	_Z54ncclDevFunc_AllReduce_RING_SIMPLE_PreMulSum_bf16_0_0_4v
	.hidden	_Z54ncclDevFunc_AllReduce_RING_SIMPLE_PreMulSum_bf16_0_1_4v
	.hidden	_Z56ncclDevFunc_AllReduce_RING_SIMPLE_PreMulSum_f8e4m3_0_0_4v
	.hidden	_Z56ncclDevFunc_AllReduce_RING_SIMPLE_PreMulSum_f8e5m2_0_0_4v
	.hidden	_Z53ncclDevFunc_AllReduce_RING_SIMPLE_SumPostDiv_u8_0_0_4v
	.hidden	_Z54ncclDevFunc_AllReduce_RING_SIMPLE_SumPostDiv_u32_0_0_4v
	.hidden	_Z54ncclDevFunc_AllReduce_RING_SIMPLE_SumPostDiv_u64_0_0_4v
	.hidden	_Z45ncclDevFunc_SendRecv_RING_SIMPLE_Sum_i8_0_0_4v
	.hidden	_Z50ncclDevFunc_AlltoAllPivot_RING_SIMPLE_Sum_i8_0_0_4v
	.ident	"AMD clang version 22.0.0git (https://github.com/RadeonOpenCompute/llvm-project roc-7.2.4 26084 f58b06dce1f9c15707c5f808fd002e18c2accf7e)"
	.section	".note.GNU-stack","",@progbits
	.addrsig
	.addrsig_sym __hip_cuid_296f4fd6a2faf298
	.amdgpu_metadata
---
amdhsa.kernels:
  - .args:
      - .offset:         0
        .size:           4096
        .value_kind:     by_value
      - .offset:         4096
        .size:           4
        .value_kind:     hidden_block_count_x
      - .offset:         4100
        .size:           4
        .value_kind:     hidden_block_count_y
      - .offset:         4104
        .size:           4
        .value_kind:     hidden_block_count_z
      - .offset:         4108
        .size:           2
        .value_kind:     hidden_group_size_x
      - .offset:         4110
        .size:           2
        .value_kind:     hidden_group_size_y
      - .offset:         4112
        .size:           2
        .value_kind:     hidden_group_size_z
      - .offset:         4114
        .size:           2
        .value_kind:     hidden_remainder_x
      - .offset:         4116
        .size:           2
        .value_kind:     hidden_remainder_y
      - .offset:         4118
        .size:           2
        .value_kind:     hidden_remainder_z
      - .offset:         4136
        .size:           8
        .value_kind:     hidden_global_offset_x
      - .offset:         4144
        .size:           8
        .value_kind:     hidden_global_offset_y
      - .offset:         4152
        .size:           8
        .value_kind:     hidden_global_offset_z
      - .offset:         4160
        .size:           2
        .value_kind:     hidden_grid_dims
      - .offset:         4176
        .size:           8
        .value_kind:     hidden_hostcall_buffer
      - .offset:         4184
        .size:           8
        .value_kind:     hidden_multigrid_sync_arg
      - .offset:         4192
        .size:           8
        .value_kind:     hidden_heap_v1
      - .offset:         4200
        .size:           8
        .value_kind:     hidden_default_queue
      - .offset:         4208
        .size:           8
        .value_kind:     hidden_completion_action
      - .offset:         4296
        .size:           8
        .value_kind:     hidden_queue_ptr
    .group_segment_fixed_size: 19744
    .kernarg_segment_align: 16
    .kernarg_segment_size: 4352
    .language:       OpenCL C
    .language_version:
      - 2
      - 0
    .max_flat_workgroup_size: 256
    .name:           _Z23ncclDevKernel_Generic_124ncclDevKernelArgsStorageILm4096EE
    .private_segment_fixed_size: 0
    .sgpr_count:     78
    .sgpr_spill_count: 0
    .symbol:         _Z23ncclDevKernel_Generic_124ncclDevKernelArgsStorageILm4096EE.kd
    .uniform_work_group_size: 1
    .uses_dynamic_stack: true
    .vgpr_count:     58
    .vgpr_spill_count: 0
    .wavefront_size: 64
  - .args:
      - .offset:         0
        .size:           4096
        .value_kind:     by_value
      - .offset:         4096
        .size:           4
        .value_kind:     hidden_block_count_x
      - .offset:         4100
        .size:           4
        .value_kind:     hidden_block_count_y
      - .offset:         4104
        .size:           4
        .value_kind:     hidden_block_count_z
      - .offset:         4108
        .size:           2
        .value_kind:     hidden_group_size_x
      - .offset:         4110
        .size:           2
        .value_kind:     hidden_group_size_y
      - .offset:         4112
        .size:           2
        .value_kind:     hidden_group_size_z
      - .offset:         4114
        .size:           2
        .value_kind:     hidden_remainder_x
      - .offset:         4116
        .size:           2
        .value_kind:     hidden_remainder_y
      - .offset:         4118
        .size:           2
        .value_kind:     hidden_remainder_z
      - .offset:         4136
        .size:           8
        .value_kind:     hidden_global_offset_x
      - .offset:         4144
        .size:           8
        .value_kind:     hidden_global_offset_y
      - .offset:         4152
        .size:           8
        .value_kind:     hidden_global_offset_z
      - .offset:         4160
        .size:           2
        .value_kind:     hidden_grid_dims
      - .offset:         4176
        .size:           8
        .value_kind:     hidden_hostcall_buffer
      - .offset:         4184
        .size:           8
        .value_kind:     hidden_multigrid_sync_arg
      - .offset:         4192
        .size:           8
        .value_kind:     hidden_heap_v1
      - .offset:         4200
        .size:           8
        .value_kind:     hidden_default_queue
      - .offset:         4208
        .size:           8
        .value_kind:     hidden_completion_action
      - .offset:         4296
        .size:           8
        .value_kind:     hidden_queue_ptr
    .group_segment_fixed_size: 19744
    .kernarg_segment_align: 16
    .kernarg_segment_size: 4352
    .language:       OpenCL C
    .language_version:
      - 2
      - 0
    .max_flat_workgroup_size: 256
    .name:           _Z23ncclDevKernel_Generic_224ncclDevKernelArgsStorageILm4096EE
    .private_segment_fixed_size: 0
    .sgpr_count:     78
    .sgpr_spill_count: 0
    .symbol:         _Z23ncclDevKernel_Generic_224ncclDevKernelArgsStorageILm4096EE.kd
    .uniform_work_group_size: 1
    .uses_dynamic_stack: true
    .vgpr_count:     58
    .vgpr_spill_count: 0
    .wavefront_size: 64
  - .args:
      - .offset:         0
        .size:           4096
        .value_kind:     by_value
      - .offset:         4096
        .size:           4
        .value_kind:     hidden_block_count_x
      - .offset:         4100
        .size:           4
        .value_kind:     hidden_block_count_y
      - .offset:         4104
        .size:           4
        .value_kind:     hidden_block_count_z
      - .offset:         4108
        .size:           2
        .value_kind:     hidden_group_size_x
      - .offset:         4110
        .size:           2
        .value_kind:     hidden_group_size_y
      - .offset:         4112
        .size:           2
        .value_kind:     hidden_group_size_z
      - .offset:         4114
        .size:           2
        .value_kind:     hidden_remainder_x
      - .offset:         4116
        .size:           2
        .value_kind:     hidden_remainder_y
      - .offset:         4118
        .size:           2
        .value_kind:     hidden_remainder_z
      - .offset:         4136
        .size:           8
        .value_kind:     hidden_global_offset_x
      - .offset:         4144
        .size:           8
        .value_kind:     hidden_global_offset_y
      - .offset:         4152
        .size:           8
        .value_kind:     hidden_global_offset_z
      - .offset:         4160
        .size:           2
        .value_kind:     hidden_grid_dims
      - .offset:         4176
        .size:           8
        .value_kind:     hidden_hostcall_buffer
      - .offset:         4184
        .size:           8
        .value_kind:     hidden_multigrid_sync_arg
      - .offset:         4192
        .size:           8
        .value_kind:     hidden_heap_v1
      - .offset:         4200
        .size:           8
        .value_kind:     hidden_default_queue
      - .offset:         4208
        .size:           8
        .value_kind:     hidden_completion_action
      - .offset:         4296
        .size:           8
        .value_kind:     hidden_queue_ptr
    .group_segment_fixed_size: 19744
    .kernarg_segment_align: 16
    .kernarg_segment_size: 4352
    .language:       OpenCL C
    .language_version:
      - 2
      - 0
    .max_flat_workgroup_size: 256
    .name:           _Z23ncclDevKernel_Generic_424ncclDevKernelArgsStorageILm4096EE
    .private_segment_fixed_size: 0
    .sgpr_count:     78
    .sgpr_spill_count: 0
    .symbol:         _Z23ncclDevKernel_Generic_424ncclDevKernelArgsStorageILm4096EE.kd
    .uniform_work_group_size: 1
    .uses_dynamic_stack: true
    .vgpr_count:     58
    .vgpr_spill_count: 0
    .wavefront_size: 64
amdhsa.target:   amdgcn-amd-amdhsa--gfx906
amdhsa.version:
  - 1
  - 2
...

	.end_amdgpu_metadata
